;; amdgpu-corpus repo=ROCm/rocFFT kind=compiled arch=gfx1030 opt=O3
	.text
	.amdgcn_target "amdgcn-amd-amdhsa--gfx1030"
	.amdhsa_code_object_version 6
	.protected	fft_rtc_fwd_len182_factors_13_2_7_wgs_52_tpt_13_half_ip_CI_sbrr_dirReg ; -- Begin function fft_rtc_fwd_len182_factors_13_2_7_wgs_52_tpt_13_half_ip_CI_sbrr_dirReg
	.globl	fft_rtc_fwd_len182_factors_13_2_7_wgs_52_tpt_13_half_ip_CI_sbrr_dirReg
	.p2align	8
	.type	fft_rtc_fwd_len182_factors_13_2_7_wgs_52_tpt_13_half_ip_CI_sbrr_dirReg,@function
fft_rtc_fwd_len182_factors_13_2_7_wgs_52_tpt_13_half_ip_CI_sbrr_dirReg: ; @fft_rtc_fwd_len182_factors_13_2_7_wgs_52_tpt_13_half_ip_CI_sbrr_dirReg
; %bb.0:
	s_clause 0x2
	s_load_dwordx2 s[14:15], s[4:5], 0x18
	s_load_dwordx4 s[8:11], s[4:5], 0x0
	s_load_dwordx2 s[12:13], s[4:5], 0x50
	v_mul_u32_u24_e32 v1, 0x13b2, v0
	v_mov_b32_e32 v3, 0
	v_lshrrev_b32_e32 v15, 16, v1
	v_mov_b32_e32 v1, 0
	v_mov_b32_e32 v6, v3
	v_mov_b32_e32 v2, 0
	v_lshl_add_u32 v5, s6, 2, v15
	s_waitcnt lgkmcnt(0)
	s_load_dwordx2 s[2:3], s[14:15], 0x0
	v_cmp_lt_u64_e64 s0, s[10:11], 2
	s_and_b32 vcc_lo, exec_lo, s0
	s_cbranch_vccnz .LBB0_8
; %bb.1:
	s_load_dwordx2 s[0:1], s[4:5], 0x10
	v_mov_b32_e32 v1, 0
	s_add_u32 s6, s14, 8
	v_mov_b32_e32 v2, 0
	s_addc_u32 s7, s15, 0
	s_mov_b64 s[18:19], 1
	s_waitcnt lgkmcnt(0)
	s_add_u32 s16, s0, 8
	s_addc_u32 s17, s1, 0
.LBB0_2:                                ; =>This Inner Loop Header: Depth=1
	s_load_dwordx2 s[20:21], s[16:17], 0x0
                                        ; implicit-def: $vgpr7_vgpr8
	s_mov_b32 s0, exec_lo
	s_waitcnt lgkmcnt(0)
	v_or_b32_e32 v4, s21, v6
	v_cmpx_ne_u64_e32 0, v[3:4]
	s_xor_b32 s1, exec_lo, s0
	s_cbranch_execz .LBB0_4
; %bb.3:                                ;   in Loop: Header=BB0_2 Depth=1
	v_cvt_f32_u32_e32 v4, s20
	v_cvt_f32_u32_e32 v7, s21
	s_sub_u32 s0, 0, s20
	s_subb_u32 s22, 0, s21
	v_fmac_f32_e32 v4, 0x4f800000, v7
	v_rcp_f32_e32 v4, v4
	v_mul_f32_e32 v4, 0x5f7ffffc, v4
	v_mul_f32_e32 v7, 0x2f800000, v4
	v_trunc_f32_e32 v7, v7
	v_fmac_f32_e32 v4, 0xcf800000, v7
	v_cvt_u32_f32_e32 v7, v7
	v_cvt_u32_f32_e32 v4, v4
	v_mul_lo_u32 v8, s0, v7
	v_mul_hi_u32 v9, s0, v4
	v_mul_lo_u32 v10, s22, v4
	v_add_nc_u32_e32 v8, v9, v8
	v_mul_lo_u32 v9, s0, v4
	v_add_nc_u32_e32 v8, v8, v10
	v_mul_hi_u32 v10, v4, v9
	v_mul_lo_u32 v11, v4, v8
	v_mul_hi_u32 v12, v4, v8
	v_mul_hi_u32 v13, v7, v9
	v_mul_lo_u32 v9, v7, v9
	v_mul_hi_u32 v14, v7, v8
	v_mul_lo_u32 v8, v7, v8
	v_add_co_u32 v10, vcc_lo, v10, v11
	v_add_co_ci_u32_e32 v11, vcc_lo, 0, v12, vcc_lo
	v_add_co_u32 v9, vcc_lo, v10, v9
	v_add_co_ci_u32_e32 v9, vcc_lo, v11, v13, vcc_lo
	v_add_co_ci_u32_e32 v10, vcc_lo, 0, v14, vcc_lo
	v_add_co_u32 v8, vcc_lo, v9, v8
	v_add_co_ci_u32_e32 v9, vcc_lo, 0, v10, vcc_lo
	v_add_co_u32 v4, vcc_lo, v4, v8
	v_add_co_ci_u32_e32 v7, vcc_lo, v7, v9, vcc_lo
	v_mul_hi_u32 v8, s0, v4
	v_mul_lo_u32 v10, s22, v4
	v_mul_lo_u32 v9, s0, v7
	v_add_nc_u32_e32 v8, v8, v9
	v_mul_lo_u32 v9, s0, v4
	v_add_nc_u32_e32 v8, v8, v10
	v_mul_hi_u32 v10, v4, v9
	v_mul_lo_u32 v11, v4, v8
	v_mul_hi_u32 v12, v4, v8
	v_mul_hi_u32 v13, v7, v9
	v_mul_lo_u32 v9, v7, v9
	v_mul_hi_u32 v14, v7, v8
	v_mul_lo_u32 v8, v7, v8
	v_add_co_u32 v10, vcc_lo, v10, v11
	v_add_co_ci_u32_e32 v11, vcc_lo, 0, v12, vcc_lo
	v_add_co_u32 v9, vcc_lo, v10, v9
	v_add_co_ci_u32_e32 v9, vcc_lo, v11, v13, vcc_lo
	v_add_co_ci_u32_e32 v10, vcc_lo, 0, v14, vcc_lo
	v_add_co_u32 v8, vcc_lo, v9, v8
	v_add_co_ci_u32_e32 v9, vcc_lo, 0, v10, vcc_lo
	v_add_co_u32 v4, vcc_lo, v4, v8
	v_add_co_ci_u32_e32 v11, vcc_lo, v7, v9, vcc_lo
	v_mul_hi_u32 v13, v5, v4
	v_mad_u64_u32 v[9:10], null, v6, v4, 0
	v_mad_u64_u32 v[7:8], null, v5, v11, 0
	;; [unrolled: 1-line block ×3, first 2 shown]
	v_add_co_u32 v4, vcc_lo, v13, v7
	v_add_co_ci_u32_e32 v7, vcc_lo, 0, v8, vcc_lo
	v_add_co_u32 v4, vcc_lo, v4, v9
	v_add_co_ci_u32_e32 v4, vcc_lo, v7, v10, vcc_lo
	v_add_co_ci_u32_e32 v7, vcc_lo, 0, v12, vcc_lo
	v_add_co_u32 v4, vcc_lo, v4, v11
	v_add_co_ci_u32_e32 v9, vcc_lo, 0, v7, vcc_lo
	v_mul_lo_u32 v10, s21, v4
	v_mad_u64_u32 v[7:8], null, s20, v4, 0
	v_mul_lo_u32 v11, s20, v9
	v_sub_co_u32 v7, vcc_lo, v5, v7
	v_add3_u32 v8, v8, v11, v10
	v_sub_nc_u32_e32 v10, v6, v8
	v_subrev_co_ci_u32_e64 v10, s0, s21, v10, vcc_lo
	v_add_co_u32 v11, s0, v4, 2
	v_add_co_ci_u32_e64 v12, s0, 0, v9, s0
	v_sub_co_u32 v13, s0, v7, s20
	v_sub_co_ci_u32_e32 v8, vcc_lo, v6, v8, vcc_lo
	v_subrev_co_ci_u32_e64 v10, s0, 0, v10, s0
	v_cmp_le_u32_e32 vcc_lo, s20, v13
	v_cmp_eq_u32_e64 s0, s21, v8
	v_cndmask_b32_e64 v13, 0, -1, vcc_lo
	v_cmp_le_u32_e32 vcc_lo, s21, v10
	v_cndmask_b32_e64 v14, 0, -1, vcc_lo
	v_cmp_le_u32_e32 vcc_lo, s20, v7
	;; [unrolled: 2-line block ×3, first 2 shown]
	v_cndmask_b32_e64 v16, 0, -1, vcc_lo
	v_cmp_eq_u32_e32 vcc_lo, s21, v10
	v_cndmask_b32_e64 v7, v16, v7, s0
	v_cndmask_b32_e32 v10, v14, v13, vcc_lo
	v_add_co_u32 v13, vcc_lo, v4, 1
	v_add_co_ci_u32_e32 v14, vcc_lo, 0, v9, vcc_lo
	v_cmp_ne_u32_e32 vcc_lo, 0, v10
	v_cndmask_b32_e32 v8, v14, v12, vcc_lo
	v_cndmask_b32_e32 v10, v13, v11, vcc_lo
	v_cmp_ne_u32_e32 vcc_lo, 0, v7
	v_cndmask_b32_e32 v8, v9, v8, vcc_lo
	v_cndmask_b32_e32 v7, v4, v10, vcc_lo
.LBB0_4:                                ;   in Loop: Header=BB0_2 Depth=1
	s_andn2_saveexec_b32 s0, s1
	s_cbranch_execz .LBB0_6
; %bb.5:                                ;   in Loop: Header=BB0_2 Depth=1
	v_cvt_f32_u32_e32 v4, s20
	s_sub_i32 s1, 0, s20
	v_rcp_iflag_f32_e32 v4, v4
	v_mul_f32_e32 v4, 0x4f7ffffe, v4
	v_cvt_u32_f32_e32 v4, v4
	v_mul_lo_u32 v7, s1, v4
	v_mul_hi_u32 v7, v4, v7
	v_add_nc_u32_e32 v4, v4, v7
	v_mul_hi_u32 v4, v5, v4
	v_mul_lo_u32 v7, v4, s20
	v_add_nc_u32_e32 v8, 1, v4
	v_sub_nc_u32_e32 v7, v5, v7
	v_subrev_nc_u32_e32 v9, s20, v7
	v_cmp_le_u32_e32 vcc_lo, s20, v7
	v_cndmask_b32_e32 v7, v7, v9, vcc_lo
	v_cndmask_b32_e32 v4, v4, v8, vcc_lo
	v_cmp_le_u32_e32 vcc_lo, s20, v7
	v_add_nc_u32_e32 v8, 1, v4
	v_cndmask_b32_e32 v7, v4, v8, vcc_lo
	v_mov_b32_e32 v8, v3
.LBB0_6:                                ;   in Loop: Header=BB0_2 Depth=1
	s_or_b32 exec_lo, exec_lo, s0
	s_load_dwordx2 s[0:1], s[6:7], 0x0
	v_mul_lo_u32 v4, v8, s20
	v_mul_lo_u32 v11, v7, s21
	v_mad_u64_u32 v[9:10], null, v7, s20, 0
	s_add_u32 s18, s18, 1
	s_addc_u32 s19, s19, 0
	s_add_u32 s6, s6, 8
	s_addc_u32 s7, s7, 0
	s_add_u32 s16, s16, 8
	s_addc_u32 s17, s17, 0
	v_add3_u32 v4, v10, v11, v4
	v_sub_co_u32 v5, vcc_lo, v5, v9
	v_sub_co_ci_u32_e32 v4, vcc_lo, v6, v4, vcc_lo
	s_waitcnt lgkmcnt(0)
	v_mul_lo_u32 v6, s1, v5
	v_mul_lo_u32 v4, s0, v4
	v_mad_u64_u32 v[1:2], null, s0, v5, v[1:2]
	v_cmp_ge_u64_e64 s0, s[18:19], s[10:11]
	s_and_b32 vcc_lo, exec_lo, s0
	v_add3_u32 v2, v6, v2, v4
	s_cbranch_vccnz .LBB0_9
; %bb.7:                                ;   in Loop: Header=BB0_2 Depth=1
	v_mov_b32_e32 v5, v7
	v_mov_b32_e32 v6, v8
	s_branch .LBB0_2
.LBB0_8:
	v_mov_b32_e32 v8, v6
	v_mov_b32_e32 v7, v5
.LBB0_9:
	s_lshl_b64 s[0:1], s[10:11], 3
	v_mul_hi_u32 v5, 0x13b13b14, v0
	s_add_u32 s0, s14, s0
	s_addc_u32 s1, s15, s1
                                        ; implicit-def: $vgpr11
                                        ; implicit-def: $vgpr17
                                        ; implicit-def: $vgpr16
                                        ; implicit-def: $vgpr14
                                        ; implicit-def: $vgpr13
                                        ; implicit-def: $vgpr12
                                        ; implicit-def: $vgpr19
                                        ; implicit-def: $vgpr18
                                        ; implicit-def: $vgpr20
                                        ; implicit-def: $vgpr21
                                        ; implicit-def: $vgpr22
                                        ; implicit-def: $vgpr23
                                        ; implicit-def: $vgpr25
                                        ; implicit-def: $vgpr28
                                        ; implicit-def: $vgpr32
                                        ; implicit-def: $vgpr33
                                        ; implicit-def: $vgpr34
                                        ; implicit-def: $vgpr35
                                        ; implicit-def: $vgpr26
                                        ; implicit-def: $vgpr29
                                        ; implicit-def: $vgpr10
	s_load_dwordx2 s[0:1], s[0:1], 0x0
	s_load_dwordx2 s[4:5], s[4:5], 0x20
	s_waitcnt lgkmcnt(0)
	v_mul_lo_u32 v6, s0, v8
	v_mul_lo_u32 v9, s1, v7
	v_mad_u64_u32 v[3:4], null, s0, v7, v[1:2]
	v_mul_u32_u24_e32 v1, 13, v5
	v_cmp_gt_u64_e32 vcc_lo, s[4:5], v[7:8]
	v_mov_b32_e32 v5, 0
                                        ; implicit-def: $vgpr7
                                        ; implicit-def: $vgpr8
	v_sub_nc_u32_e32 v2, v0, v1
	v_add3_u32 v4, v9, v4, v6
                                        ; implicit-def: $vgpr6
                                        ; implicit-def: $vgpr9
	v_lshlrev_b64 v[0:1], 2, v[3:4]
	s_and_saveexec_b32 s1, vcc_lo
	s_cbranch_execz .LBB0_13
; %bb.10:
	v_add_nc_u32_e32 v11, 14, v2
	v_mad_u64_u32 v[5:6], null, s2, v2, 0
	v_add_nc_u32_e32 v14, 28, v2
	v_add_nc_u32_e32 v18, 42, v2
	v_mad_u64_u32 v[7:8], null, s2, v11, 0
	v_add_nc_u32_e32 v20, 56, v2
	v_add_nc_u32_e32 v24, 0x54, v2
	v_mov_b32_e32 v3, v6
	v_add_nc_u32_e32 v26, 0x62, v2
	v_or_b32_e32 v28, 0x70, v2
	v_mad_u64_u32 v[16:17], null, s2, v20, 0
	v_mov_b32_e32 v4, v8
	v_mad_u64_u32 v[22:23], null, s2, v26, 0
	v_add_nc_u32_e32 v30, 0x7e, v2
	v_add_nc_u32_e32 v31, 0x8c, v2
	v_mad_u64_u32 v[8:9], null, s3, v2, v[3:4]
	v_mad_u64_u32 v[9:10], null, s2, v14, 0
	;; [unrolled: 1-line block ×4, first 2 shown]
	v_mov_b32_e32 v6, v8
	v_add_co_u32 v3, s0, s12, v0
	v_add_co_ci_u32_e64 v4, s0, s13, v1, s0
	v_mov_b32_e32 v8, v11
	v_mad_u64_u32 v[10:11], null, s3, v14, v[10:11]
	v_mov_b32_e32 v11, v13
	v_lshlrev_b64 v[5:6], 2, v[5:6]
	v_lshlrev_b64 v[7:8], 2, v[7:8]
	v_add_nc_u32_e32 v33, 0x9a, v2
	v_add_nc_u32_e32 v34, 0xa8, v2
	v_mad_u64_u32 v[13:14], null, s3, v18, v[11:12]
	v_add_nc_u32_e32 v14, 0x46, v2
	v_mov_b32_e32 v11, v17
	v_add_co_u32 v5, s0, v3, v5
	v_lshlrev_b64 v[9:10], 2, v[9:10]
	v_mad_u64_u32 v[18:19], null, s2, v14, 0
	v_mad_u64_u32 v[20:21], null, s3, v20, v[11:12]
	v_lshlrev_b64 v[11:12], 2, v[12:13]
	v_add_co_ci_u32_e64 v6, s0, v4, v6, s0
	v_add_co_u32 v7, s0, v3, v7
	v_mov_b32_e32 v13, v19
	v_mov_b32_e32 v17, v20
	v_mad_u64_u32 v[20:21], null, s2, v24, 0
	v_add_co_ci_u32_e64 v8, s0, v4, v8, s0
	v_mad_u64_u32 v[13:14], null, s3, v14, v[13:14]
	v_add_co_u32 v9, s0, v3, v9
	v_mov_b32_e32 v14, v21
	v_lshlrev_b64 v[16:17], 2, v[16:17]
	v_add_co_ci_u32_e64 v10, s0, v4, v10, s0
	v_mov_b32_e32 v19, v13
	v_mad_u64_u32 v[13:14], null, s3, v24, v[14:15]
	v_mov_b32_e32 v14, v23
	v_add_co_u32 v11, s0, v3, v11
	v_lshlrev_b64 v[18:19], 2, v[18:19]
	v_mad_u64_u32 v[24:25], null, s2, v28, 0
	v_add_co_ci_u32_e64 v12, s0, v4, v12, s0
	v_add_co_u32 v16, s0, v3, v16
	v_mov_b32_e32 v21, v13
	v_mad_u64_u32 v[26:27], null, s3, v26, v[14:15]
	v_add_co_ci_u32_e64 v17, s0, v4, v17, s0
	v_add_co_u32 v13, s0, v3, v18
	v_add_co_ci_u32_e64 v14, s0, v4, v19, s0
	v_lshlrev_b64 v[18:19], 2, v[20:21]
	v_mov_b32_e32 v20, v25
	v_mov_b32_e32 v23, v26
	v_mad_u64_u32 v[26:27], null, s2, v30, 0
	s_mov_b32 s4, exec_lo
	v_mad_u64_u32 v[20:21], null, s3, v28, v[20:21]
	v_mad_u64_u32 v[28:29], null, s2, v31, 0
	v_lshlrev_b64 v[21:22], 2, v[22:23]
	v_mov_b32_e32 v23, v27
	v_add_co_u32 v18, s0, v3, v18
	v_mov_b32_e32 v25, v20
	v_add_co_ci_u32_e64 v19, s0, v4, v19, s0
	v_mov_b32_e32 v20, v29
	v_mad_u64_u32 v[29:30], null, s3, v30, v[23:24]
	v_add_co_u32 v35, s0, v3, v21
	v_mad_u64_u32 v[30:31], null, s3, v31, v[20:21]
	v_mad_u64_u32 v[31:32], null, s2, v33, 0
	v_lshlrev_b64 v[20:21], 2, v[24:25]
	v_mad_u64_u32 v[23:24], null, s2, v34, 0
	v_add_co_ci_u32_e64 v36, s0, v4, v22, s0
	v_mov_b32_e32 v27, v29
	v_mov_b32_e32 v22, v32
	v_add_co_u32 v37, s0, v3, v20
	v_add_co_ci_u32_e64 v38, s0, v4, v21, s0
	v_mad_u64_u32 v[32:33], null, s3, v33, v[22:23]
	v_lshlrev_b64 v[21:22], 2, v[26:27]
	v_mov_b32_e32 v20, v24
	v_mov_b32_e32 v29, v30
	v_mad_u64_u32 v[26:27], null, s3, v34, v[20:21]
	v_lshlrev_b64 v[24:25], 2, v[28:29]
	v_add_co_u32 v27, s0, v3, v21
	v_add_co_ci_u32_e64 v28, s0, v4, v22, s0
	v_lshlrev_b64 v[20:21], 2, v[31:32]
	v_add_co_u32 v29, s0, v3, v24
	v_mov_b32_e32 v24, v26
	v_add_co_ci_u32_e64 v30, s0, v4, v25, s0
	v_add_co_u32 v39, s0, v3, v20
	v_lshlrev_b64 v[23:24], 2, v[23:24]
	v_add_co_ci_u32_e64 v40, s0, v4, v21, s0
	s_clause 0x7
	global_load_dword v34, v[9:10], off
	global_load_dword v32, v[11:12], off
	;; [unrolled: 1-line block ×8, first 2 shown]
                                        ; implicit-def: $vgpr18
                                        ; implicit-def: $vgpr19
                                        ; implicit-def: $vgpr12
                                        ; implicit-def: $vgpr13
                                        ; implicit-def: $vgpr14
                                        ; implicit-def: $vgpr16
                                        ; implicit-def: $vgpr17
                                        ; implicit-def: $vgpr11
                                        ; implicit-def: $vgpr9
                                        ; implicit-def: $vgpr8
                                        ; implicit-def: $vgpr7
	v_add_co_u32 v5, s0, v3, v23
	v_add_co_ci_u32_e64 v6, s0, v4, v24, s0
	s_clause 0x4
	global_load_dword v23, v[37:38], off
	global_load_dword v28, v[27:28], off
	global_load_dword v33, v[29:30], off
	global_load_dword v35, v[39:40], off
	global_load_dword v29, v[5:6], off
	v_mov_b32_e32 v5, 0
                                        ; implicit-def: $vgpr6
	v_cmpx_eq_u32_e32 0, v2
	s_cbranch_execz .LBB0_12
; %bb.11:
	v_mad_u64_u32 v[5:6], null, s2, 52, v[3:4]
	v_mad_u64_u32 v[7:8], null, 0x6c, s2, v[3:4]
	;; [unrolled: 1-line block ×4, first 2 shown]
	v_mov_b32_e32 v2, v6
	v_mad_u64_u32 v[13:14], null, 0xdc, s2, v[3:4]
	v_mov_b32_e32 v6, v8
	v_mad_u64_u32 v[41:42], null, 0x1bc, s2, v[3:4]
	v_mad_u64_u32 v[8:9], null, s3, 52, v[2:3]
	v_mov_b32_e32 v9, v31
	v_mov_b32_e32 v2, v12
	v_mad_u64_u32 v[16:17], null, 0x6c, s3, v[6:7]
	v_mov_b32_e32 v6, v14
	s_waitcnt vmcnt(5)
	v_mad_u64_u32 v[36:37], null, 0x114, s3, v[9:10]
	v_mad_u64_u32 v[37:38], null, 0x14c, s2, v[3:4]
	;; [unrolled: 1-line block ×4, first 2 shown]
	v_mov_b32_e32 v6, v8
	v_mov_b32_e32 v8, v16
	;; [unrolled: 1-line block ×5, first 2 shown]
	v_mad_u64_u32 v[39:40], null, 0x184, s2, v[3:4]
	v_mov_b32_e32 v14, v18
	v_mad_u64_u32 v[17:18], null, 0x14c, s3, v[2:3]
	v_mad_u64_u32 v[43:44], null, 0x1f4, s2, v[3:4]
	;; [unrolled: 1-line block ×3, first 2 shown]
	v_mov_b32_e32 v9, v40
	v_mad_u64_u32 v[50:51], null, 0x29c, s2, v[3:4]
	v_mad_u64_u32 v[45:46], null, 0x1bc, s3, v[16:17]
	;; [unrolled: 1-line block ×4, first 2 shown]
	v_mov_b32_e32 v2, v44
	v_mad_u64_u32 v[18:19], null, 0x184, s3, v[9:10]
	v_mov_b32_e32 v31, v36
	v_mov_b32_e32 v9, v47
	;; [unrolled: 1-line block ×3, first 2 shown]
	v_mad_u64_u32 v[52:53], null, 0x1f4, s3, v[2:3]
	v_mov_b32_e32 v2, v49
	v_mad_u64_u32 v[53:54], null, 0x22c, s3, v[9:10]
	v_mov_b32_e32 v9, v51
	v_mov_b32_e32 v40, v18
	v_mad_u64_u32 v[54:55], null, 0x264, s3, v[2:3]
	v_mov_b32_e32 v42, v45
	v_mad_u64_u32 v[55:56], null, 0x29c, s3, v[9:10]
	v_mad_u64_u32 v[56:57], null, 0x2d4, s3, v[4:5]
	v_mov_b32_e32 v44, v52
	v_mov_b32_e32 v47, v53
	;; [unrolled: 1-line block ×6, first 2 shown]
	s_clause 0xc
	global_load_dword v5, v[5:6], off
	global_load_dword v19, v[7:8], off
	;; [unrolled: 1-line block ×13, first 2 shown]
.LBB0_12:
	s_or_b32 exec_lo, exec_lo, s4
.LBB0_13:
	s_or_b32 exec_lo, exec_lo, s1
	s_waitcnt vmcnt(5)
	v_pk_add_f16 v3, v10, v26
	v_and_b32_e32 v4, 3, v15
	s_waitcnt vmcnt(0)
	v_pk_add_f16 v24, v26, v29 neg_lo:[0,1] neg_hi:[0,1]
	v_pk_add_f16 v30, v26, v29
	v_pk_add_f16 v31, v34, v35 neg_lo:[0,1] neg_hi:[0,1]
	v_pk_add_f16 v26, v3, v34
	v_mul_u32_u24_e32 v3, 0xb6, v4
	v_pk_mul_f16 v27, 0xb770, v24 op_sel_hi:[0,1]
	v_mul_f16_e32 v36, 0x388b, v30
	v_lshrrev_b32_e32 v37, 16, v24
	v_pk_add_f16 v4, v26, v32
	v_mul_f16_e32 v40, 0x2fb7, v30
	v_mul_f16_e32 v42, 0xb5ac, v30
	;; [unrolled: 1-line block ×3, first 2 shown]
	v_pk_fma_f16 v26, 0x3b15, v30, v27 op_sel:[0,0,1] op_sel_hi:[0,1,0] neg_lo:[0,0,1] neg_hi:[0,0,1]
	v_pk_add_f16 v4, v4, v25
	v_pk_fma_f16 v27, 0x3b15, v30, v27 op_sel:[0,0,1] op_sel_hi:[0,1,0]
	v_pk_add_f16 v34, v34, v35
	v_lshrrev_b32_e32 v38, 16, v30
	v_mul_f16_e32 v39, 0xba95, v24
	v_pk_add_f16 v45, v4, v22
	v_mul_f16_e32 v41, 0xbbf1, v24
	v_mul_f16_e32 v43, 0xbb7b, v24
	v_fmamk_f16 v46, v37, 0x3a95, v36
	v_fmac_f16_e32 v36, 0xba95, v37
	v_pk_add_f16 v45, v45, v20
	v_fmamk_f16 v48, v37, 0x3bf1, v40
	v_fmac_f16_e32 v40, 0xbbf1, v37
	v_fmamk_f16 v50, v37, 0x3b7b, v42
	v_fmac_f16_e32 v42, 0xbb7b, v37
	v_pk_add_f16 v45, v45, v21
	v_bfi_b32 v52, 0xffff, v26, v27
	v_mul_f16_e32 v53, 0xb94e, v24
	v_mul_f16_e32 v55, 0xb5ac, v34
	v_lshrrev_b32_e32 v56, 16, v31
	v_pk_add_f16 v45, v45, v23
	v_fmamk_f16 v47, v38, 0x388b, v39
	v_fma_f16 v39, v38, 0x388b, -v39
	v_fmamk_f16 v49, v38, 0x2fb7, v41
	v_fma_f16 v41, v38, 0x2fb7, -v41
	v_pk_add_f16 v45, v45, v28
	v_fmamk_f16 v51, v38, 0xb5ac, v43
	v_add_f16_e32 v46, v46, v10
	v_pk_add_f16 v52, v52, v10
	v_fma_f16 v43, v38, 0xb5ac, -v43
	v_pk_add_f16 v45, v45, v33
	v_fmamk_f16 v54, v38, 0xb9fd, v53
	v_fma_f16 v38, v38, 0xb9fd, -v53
	v_fmamk_f16 v57, v56, 0x3b7b, v55
	v_lshrrev_b32_e32 v58, 16, v34
	v_pk_add_f16 v45, v45, v35
	v_pk_mul_f16 v35, 0xba95, v31 op_sel_hi:[0,1]
	v_mul_f16_e32 v59, 0xbb7b, v31
	v_add_f16_e32 v36, v36, v10
	v_add_f16_sdwa v39, v39, v10 dst_sel:DWORD dst_unused:UNUSED_PAD src0_sel:DWORD src1_sel:WORD_1
	v_pk_add_f16 v29, v45, v29
	v_fmamk_f16 v45, v37, 0x394e, v44
	v_fmac_f16_e32 v44, 0xb94e, v37
	v_pk_fma_f16 v37, 0x388b, v34, v35 op_sel:[0,0,1] op_sel_hi:[0,1,0] neg_lo:[0,0,1] neg_hi:[0,0,1]
	v_pk_fma_f16 v35, 0x388b, v34, v35 op_sel:[0,0,1] op_sel_hi:[0,1,0]
	v_add_f16_e32 v46, v57, v46
	v_fmamk_f16 v57, v58, 0xb5ac, v59
	v_fmac_f16_e32 v55, 0xbb7b, v56
	v_fma_f16 v59, v58, 0xb5ac, -v59
	v_bfi_b32 v53, 0xffff, v37, v35
	v_mul_f16_e32 v60, 0xb3a8, v31
	v_add_f16_sdwa v47, v47, v10 dst_sel:DWORD dst_unused:UNUSED_PAD src0_sel:DWORD src1_sel:WORD_1
	v_add_f16_sdwa v49, v49, v10 dst_sel:DWORD dst_unused:UNUSED_PAD src0_sel:DWORD src1_sel:WORD_1
	v_add_f16_e32 v40, v40, v10
	v_pk_add_f16 v52, v53, v52
	v_mul_f16_e32 v53, 0xbbc4, v34
	v_add_f16_e32 v36, v55, v36
	v_add_f16_e32 v39, v59, v39
	v_fmamk_f16 v55, v58, 0xbbc4, v60
	v_mul_f16_e32 v59, 0x394e, v31
	v_fmamk_f16 v61, v56, 0x33a8, v53
	v_fmac_f16_e32 v53, 0xb3a8, v56
	v_add_f16_sdwa v41, v41, v10 dst_sel:DWORD dst_unused:UNUSED_PAD src0_sel:DWORD src1_sel:WORD_1
	v_add_f16_sdwa v51, v51, v10 dst_sel:DWORD dst_unused:UNUSED_PAD src0_sel:DWORD src1_sel:WORD_1
	v_add_f16_e32 v47, v57, v47
	v_mul_f16_e32 v57, 0xb9fd, v34
	v_add_f16_e32 v49, v55, v49
	v_fma_f16 v55, v58, 0xbbc4, -v60
	v_add_f16_e32 v40, v53, v40
	v_fmamk_f16 v53, v58, 0xb9fd, v59
	v_add_f16_e32 v50, v50, v10
	v_add_f16_e32 v42, v42, v10
	v_fmamk_f16 v60, v56, 0xb94e, v57
	v_fmac_f16_e32 v57, 0x394e, v56
	v_add_f16_e32 v41, v55, v41
	v_mul_f16_e32 v55, 0x2fb7, v34
	v_add_f16_e32 v51, v53, v51
	v_pk_add_f16 v53, v32, v33 neg_lo:[0,1] neg_hi:[0,1]
	v_add_f16_e32 v48, v48, v10
	v_add_f16_sdwa v43, v43, v10 dst_sel:DWORD dst_unused:UNUSED_PAD src0_sel:DWORD src1_sel:WORD_1
	v_add_f16_e32 v45, v45, v10
	v_add_f16_e32 v50, v60, v50
	;; [unrolled: 1-line block ×3, first 2 shown]
	v_fma_f16 v57, v58, 0xb9fd, -v59
	v_fmamk_f16 v59, v56, 0xbbf1, v55
	v_mul_f16_e32 v60, 0x3bf1, v31
	v_pk_add_f16 v32, v32, v33
	v_pk_mul_f16 v33, 0xbbf1, v53 op_sel_hi:[0,1]
	v_add_f16_sdwa v54, v54, v10 dst_sel:DWORD dst_unused:UNUSED_PAD src0_sel:DWORD src1_sel:WORD_1
	v_add_f16_e32 v44, v44, v10
	v_add_f16_e32 v48, v61, v48
	;; [unrolled: 1-line block ×4, first 2 shown]
	v_fmamk_f16 v57, v58, 0x2fb7, v60
	v_fmac_f16_e32 v55, 0x3bf1, v56
	v_pk_fma_f16 v56, 0x2fb7, v32, v33 op_sel:[0,0,1] op_sel_hi:[0,1,0] neg_lo:[0,0,1] neg_hi:[0,0,1]
	v_pk_fma_f16 v33, 0x2fb7, v32, v33 op_sel:[0,0,1] op_sel_hi:[0,1,0]
	v_mul_f16_e32 v59, 0xbbc4, v32
	v_lshrrev_b32_e32 v61, 16, v53
	v_add_f16_sdwa v38, v38, v10 dst_sel:DWORD dst_unused:UNUSED_PAD src0_sel:DWORD src1_sel:WORD_1
	v_add_f16_e32 v54, v57, v54
	v_add_f16_e32 v44, v55, v44
	v_fma_f16 v55, v58, 0x2fb7, -v60
	v_bfi_b32 v57, 0xffff, v56, v33
	v_fmamk_f16 v58, v61, 0x33a8, v59
	v_lshrrev_b32_e32 v60, 16, v32
	v_mul_f16_e32 v62, 0xb3a8, v53
	v_add_f16_e32 v38, v55, v38
	v_pk_add_f16 v52, v57, v52
	v_add_f16_e32 v46, v58, v46
	v_mul_f16_e32 v55, 0xb5ac, v32
	v_fmamk_f16 v57, v60, 0xbbc4, v62
	v_fmac_f16_e32 v59, 0xb3a8, v61
	v_fma_f16 v58, v60, 0xbbc4, -v62
	v_mul_f16_e32 v62, 0x3b7b, v53
	v_fmamk_f16 v63, v61, 0xbb7b, v55
	v_add_f16_e32 v47, v57, v47
	v_add_f16_e32 v36, v59, v36
	v_fmac_f16_e32 v55, 0x3b7b, v61
	v_fmamk_f16 v57, v60, 0xb5ac, v62
	v_mul_f16_e32 v59, 0x3770, v53
	v_add_f16_e32 v39, v58, v39
	v_mul_f16_e32 v58, 0x3b15, v32
	v_add_f16_e32 v40, v55, v40
	v_add_f16_e32 v49, v57, v49
	v_fma_f16 v57, v60, 0xb5ac, -v62
	v_fmamk_f16 v55, v60, 0x3b15, v59
	v_fmamk_f16 v62, v61, 0xb770, v58
	v_fmac_f16_e32 v58, 0x3770, v61
	v_add_f16_e32 v48, v63, v48
	v_add_f16_e32 v41, v57, v41
	v_mul_f16_e32 v57, 0x388b, v32
	v_add_f16_e32 v51, v55, v51
	v_pk_add_f16 v55, v25, v28 neg_lo:[0,1] neg_hi:[0,1]
	v_add_f16_e32 v50, v62, v50
	v_add_f16_e32 v42, v58, v42
	v_fma_f16 v58, v60, 0x3b15, -v59
	v_fmamk_f16 v59, v61, 0x3a95, v57
	v_mul_f16_e32 v62, 0xba95, v53
	v_pk_add_f16 v25, v25, v28
	v_pk_mul_f16 v28, 0xbb7b, v55 op_sel_hi:[0,1]
	v_add_f16_e32 v43, v58, v43
	v_add_f16_e32 v45, v59, v45
	v_fmamk_f16 v58, v60, 0x388b, v62
	v_fmac_f16_e32 v57, 0xba95, v61
	v_pk_fma_f16 v59, 0xb5ac, v25, v28 op_sel:[0,0,1] op_sel_hi:[0,1,0] neg_lo:[0,0,1] neg_hi:[0,0,1]
	v_pk_fma_f16 v28, 0xb5ac, v25, v28 op_sel:[0,0,1] op_sel_hi:[0,1,0]
	v_mul_f16_e32 v61, 0xb9fd, v25
	v_lshrrev_b32_e32 v63, 16, v55
	v_add_f16_e32 v54, v58, v54
	v_add_f16_e32 v44, v57, v44
	v_fma_f16 v57, v60, 0x388b, -v62
	v_bfi_b32 v58, 0xffff, v59, v28
	v_fmamk_f16 v60, v63, 0xb94e, v61
	v_lshrrev_b32_e32 v62, 16, v25
	v_mul_f16_e32 v64, 0x394e, v55
	v_mul_f16_e32 v65, 0x3770, v55
	v_pk_add_f16 v52, v58, v52
	v_add_f16_e32 v46, v60, v46
	v_add_f16_e32 v38, v57, v38
	v_fmamk_f16 v58, v62, 0xb9fd, v64
	v_fma_f16 v60, v62, 0xb9fd, -v64
	v_mul_f16_e32 v57, 0x3b15, v25
	v_fmac_f16_e32 v61, 0x394e, v63
	v_mul_u32_u24_e32 v15, 52, v2
	v_add_f16_e32 v47, v58, v47
	v_add_f16_e32 v39, v60, v39
	v_fmamk_f16 v58, v62, 0x3b15, v65
	v_mul_f16_e32 v60, 0x2fb7, v25
	v_fmamk_f16 v64, v63, 0xb770, v57
	v_add_f16_e32 v36, v61, v36
	v_mul_f16_e32 v61, 0xbbf1, v55
	v_add_f16_e32 v49, v58, v49
	v_fmamk_f16 v58, v63, 0x3bf1, v60
	v_fmac_f16_e32 v60, 0xbbf1, v63
	v_fmac_f16_e32 v57, 0x3770, v63
	v_add_f16_e32 v48, v64, v48
	v_fma_f16 v64, v62, 0x3b15, -v65
	v_fmamk_f16 v65, v62, 0x2fb7, v61
	v_add_f16_e32 v42, v60, v42
	v_pk_add_f16 v60, v22, v23 neg_lo:[0,1] neg_hi:[0,1]
	v_add_f16_e32 v40, v57, v40
	v_add_f16_e32 v50, v58, v50
	v_mul_f16_e32 v57, 0xbbc4, v25
	v_mul_f16_e32 v58, 0x33a8, v55
	v_fma_f16 v61, v62, 0x2fb7, -v61
	v_pk_add_f16 v22, v22, v23
	v_pk_mul_f16 v23, 0xb94e, v60 op_sel_hi:[0,1]
	v_add_f16_e32 v41, v64, v41
	v_add_f16_e32 v51, v65, v51
	v_fmamk_f16 v64, v63, 0xb3a8, v57
	v_fmamk_f16 v65, v62, 0xbbc4, v58
	v_add_f16_e32 v43, v61, v43
	v_fmac_f16_e32 v57, 0x33a8, v63
	v_pk_fma_f16 v61, 0xb9fd, v22, v23 op_sel:[0,0,1] op_sel_hi:[0,1,0] neg_lo:[0,0,1] neg_hi:[0,0,1]
	v_pk_fma_f16 v23, 0xb9fd, v22, v23 op_sel:[0,0,1] op_sel_hi:[0,1,0]
	v_add_f16_e32 v45, v64, v45
	v_add_f16_e32 v54, v65, v54
	;; [unrolled: 1-line block ×3, first 2 shown]
	v_mul_f16_e32 v57, 0x2fb7, v22
	v_lshrrev_b32_e32 v63, 16, v60
	v_fma_f16 v58, v62, 0xbbc4, -v58
	v_bfi_b32 v62, 0xffff, v61, v23
	v_lshrrev_b32_e32 v64, 16, v22
	v_mul_f16_e32 v65, 0x3bf1, v60
	v_fmamk_f16 v66, v63, 0xbbf1, v57
	v_add_f16_e32 v38, v58, v38
	v_pk_add_f16 v52, v62, v52
	v_mul_f16_e32 v58, 0x388b, v22
	v_fmamk_f16 v62, v64, 0x2fb7, v65
	v_fmac_f16_e32 v57, 0x3bf1, v63
	v_add_f16_e32 v46, v66, v46
	v_fma_f16 v65, v64, 0x2fb7, -v65
	v_fmamk_f16 v66, v63, 0x3a95, v58
	v_add_f16_e32 v47, v62, v47
	v_mul_f16_e32 v62, 0xba95, v60
	v_add_f16_e32 v36, v57, v36
	v_mul_f16_e32 v57, 0xbbc4, v22
	v_add_f16_e32 v39, v65, v39
	v_add_f16_e32 v48, v66, v48
	v_fmamk_f16 v65, v64, 0x388b, v62
	v_mul_f16_e32 v66, 0x33a8, v60
	v_fmac_f16_e32 v58, 0xba95, v63
	v_fma_f16 v62, v64, 0x388b, -v62
	v_fmamk_f16 v67, v63, 0xb3a8, v57
	v_add_f16_e32 v49, v65, v49
	v_fmamk_f16 v65, v64, 0xbbc4, v66
	v_add_f16_e32 v40, v58, v40
	v_add_f16_e32 v41, v62, v41
	;; [unrolled: 1-line block ×3, first 2 shown]
	v_mul_f16_e32 v58, 0x3b15, v22
	v_fmac_f16_e32 v57, 0x33a8, v63
	v_pk_add_f16 v62, v20, v21 neg_lo:[0,1] neg_hi:[0,1]
	v_mul_f16_e32 v67, 0x3770, v60
	v_add_f16_e32 v51, v65, v51
	v_fma_f16 v65, v64, 0xbbc4, -v66
	v_fmamk_f16 v66, v63, 0xb770, v58
	v_pk_add_f16 v20, v20, v21
	v_pk_mul_f16 v21, 0xb3a8, v62 op_sel_hi:[0,1]
	v_add_f16_e32 v42, v57, v42
	v_fmamk_f16 v57, v64, 0x3b15, v67
	v_add_f16_e32 v43, v65, v43
	v_add_f16_e32 v45, v66, v45
	v_pk_fma_f16 v65, 0xbbc4, v20, v21 op_sel:[0,0,1] op_sel_hi:[0,1,0] neg_lo:[0,0,1] neg_hi:[0,0,1]
	v_pk_fma_f16 v21, 0xbbc4, v20, v21 op_sel:[0,0,1] op_sel_hi:[0,1,0]
	v_mul_f16_e32 v66, 0x3b15, v20
	v_lshrrev_b32_e32 v68, 16, v62
	v_add_f16_e32 v54, v57, v54
	v_fmac_f16_e32 v58, 0x3770, v63
	v_fma_f16 v57, v64, 0x3b15, -v67
	v_lshrrev_b32_e32 v67, 16, v20
	v_mul_f16_e32 v69, 0x3770, v62
	v_bfi_b32 v63, 0xffff, v65, v21
	v_fmamk_f16 v64, v68, 0xb770, v66
	v_add_f16_e32 v44, v58, v44
	v_add_f16_e32 v38, v57, v38
	v_fmamk_f16 v57, v67, 0x3b15, v69
	v_mul_f16_e32 v58, 0xb9fd, v20
	v_pk_add_f16 v52, v63, v52
	v_add_f16_e32 v46, v64, v46
	v_fma_f16 v63, v67, 0x3b15, -v69
	v_mul_f16_e32 v64, 0xb94e, v62
	v_add_f16_e32 v47, v57, v47
	v_fmamk_f16 v57, v68, 0x394e, v58
	v_fmac_f16_e32 v58, 0xb94e, v68
	v_add_f16_e32 v39, v63, v39
	v_fmamk_f16 v63, v67, 0xb9fd, v64
	v_fmac_f16_e32 v66, 0x3770, v68
	v_add_f16_e32 v48, v57, v48
	v_fma_f16 v57, v67, 0xb9fd, -v64
	v_mul_f16_e32 v64, 0x3a95, v62
	v_add_f16_e32 v40, v58, v40
	v_mul_f16_e32 v69, 0xbb7b, v62
	v_lshlrev_b32_e32 v4, 2, v3
	v_add_f16_e32 v36, v66, v36
	v_fmamk_f16 v58, v67, 0x388b, v64
	v_mul_f16_e32 v66, 0x388b, v20
	v_pk_mul_f16 v30, 0xbbc4, v30 op_sel_hi:[0,1]
	v_add3_u32 v15, 0, v15, v4
	v_add_f16_e32 v49, v63, v49
	v_add_f16_e32 v51, v58, v51
	v_fmamk_f16 v58, v67, 0xb5ac, v69
	v_fmamk_f16 v63, v68, 0xba95, v66
	v_pack_b32_f16 v46, v46, v47
	v_pk_mul_f16 v34, 0x3b15, v34 op_sel_hi:[0,1]
	v_pk_mul_f16 v32, 0xb9fd, v32 op_sel_hi:[0,1]
	v_add_f16_e32 v47, v58, v54
	v_pk_fma_f16 v54, 0xb3a8, v24, v30 op_sel:[0,0,1] op_sel_hi:[0,1,0] neg_lo:[0,1,0] neg_hi:[0,1,0]
	v_add_f16_e32 v50, v63, v50
	ds_write2_b32 v15, v52, v46 offset0:1 offset1:2
	v_pk_fma_f16 v24, 0xb3a8, v24, v30 op_sel:[0,0,1] op_sel_hi:[0,1,0]
	v_pk_fma_f16 v30, 0x3770, v31, v34 op_sel:[0,0,1] op_sel_hi:[0,1,0] neg_lo:[0,1,0] neg_hi:[0,1,0]
	v_alignbit_b32 v46, s0, v54, 16
	v_pack_b32_f16 v50, v50, v51
	v_pack_b32_f16 v48, v48, v49
	v_alignbit_b32 v49, s0, v10, 16
	v_pk_add_f16 v24, v24, v10 op_sel:[0,1] op_sel_hi:[1,0]
	v_pk_add_f16 v46, v46, v10
	v_alignbit_b32 v51, s0, v30, 16
	v_pk_fma_f16 v31, 0x3770, v31, v34 op_sel:[0,0,1] op_sel_hi:[0,1,0]
	v_pk_fma_f16 v34, 0xb94e, v53, v32 op_sel:[0,0,1] op_sel_hi:[0,1,0] neg_lo:[0,1,0] neg_hi:[0,1,0]
	v_pk_mul_f16 v25, 0x388b, v25 op_sel_hi:[0,1]
	v_pk_add_f16 v49, v54, v49
	v_pk_add_f16 v46, v51, v46
	;; [unrolled: 1-line block ×3, first 2 shown]
	v_alignbit_b32 v31, s0, v34, 16
	v_pk_fma_f16 v32, 0xb94e, v53, v32 op_sel:[0,0,1] op_sel_hi:[0,1,0]
	v_pk_fma_f16 v51, 0x3a95, v55, v25 op_sel:[0,0,1] op_sel_hi:[0,1,0] neg_lo:[0,1,0] neg_hi:[0,1,0]
	v_pk_mul_f16 v22, 0xb5ac, v22 op_sel_hi:[0,1]
	v_bfi_b32 v26, 0xffff, v27, v26
	v_pk_add_f16 v30, v30, v49
	v_pk_add_f16 v31, v31, v46
	;; [unrolled: 1-line block ×3, first 2 shown]
	v_alignbit_b32 v32, s0, v51, 16
	v_pk_fma_f16 v25, 0x3a95, v55, v25 op_sel:[0,0,1] op_sel_hi:[0,1,0]
	v_pk_fma_f16 v46, 0xbb7b, v60, v22 op_sel:[0,0,1] op_sel_hi:[0,1,0] neg_lo:[0,1,0] neg_hi:[0,1,0]
	v_pk_add_f16 v10, v26, v10
	v_bfi_b32 v26, 0xffff, v35, v37
	v_add_f16_e32 v41, v57, v41
	v_mul_f16_e32 v57, 0xb5ac, v20
	v_pk_add_f16 v30, v34, v30
	v_pk_add_f16 v27, v32, v31
	;; [unrolled: 1-line block ×3, first 2 shown]
	v_alignbit_b32 v25, s0, v46, 16
	v_pk_mul_f16 v20, 0x2fb7, v20 op_sel_hi:[0,1]
	v_pk_add_f16 v10, v26, v10
	v_bfi_b32 v26, 0xffff, v33, v56
	v_pk_add_f16 v30, v51, v30
	v_pk_fma_f16 v22, 0xbb7b, v60, v22 op_sel:[0,0,1] op_sel_hi:[0,1,0]
	v_pk_add_f16 v25, v25, v27
	v_pk_fma_f16 v27, 0x3bf1, v62, v20 op_sel:[0,0,1] op_sel_hi:[0,1,0] neg_lo:[0,1,0] neg_hi:[0,1,0]
	v_fma_f16 v63, v67, 0x388b, -v64
	v_pk_add_f16 v10, v26, v10
	v_bfi_b32 v26, 0xffff, v28, v59
	v_pk_add_f16 v22, v22, v24
	v_pk_add_f16 v24, v46, v30
	v_alignbit_b32 v30, s0, v27, 16
	v_pk_fma_f16 v20, 0x3bf1, v62, v20 op_sel:[0,0,1] op_sel_hi:[0,1,0]
	v_fmac_f16_e32 v66, 0x3a95, v68
	v_fmamk_f16 v64, v68, 0x3b7b, v57
	v_add_f16_e32 v43, v63, v43
	v_fmac_f16_e32 v57, 0xbb7b, v68
	v_fma_f16 v63, v67, 0xb5ac, -v69
	v_pk_add_f16 v10, v26, v10
	v_bfi_b32 v23, 0xffff, v23, v61
	v_pk_add_f16 v25, v30, v25
	v_pk_add_f16 v20, v20, v22
	;; [unrolled: 1-line block ×3, first 2 shown]
	v_add_f16_e32 v42, v66, v42
	v_add_f16_e32 v45, v64, v45
	;; [unrolled: 1-line block ×4, first 2 shown]
	v_pk_add_f16 v10, v23, v10
	v_bfi_b32 v21, 0xffff, v21, v65
	v_alignbit_b32 v22, v22, v20, 16
	v_pack_b32_f16 v20, v25, v20
	v_pack_b32_f16 v28, v45, v47
	v_pack_b32_f16 v23, v42, v43
	v_pack_b32_f16 v24, v44, v38
	v_pack_b32_f16 v25, v36, v39
	v_pack_b32_f16 v26, v40, v41
	v_pk_add_f16 v10, v21, v10
	s_mov_b32 s1, exec_lo
	ds_write2_b32 v15, v48, v50 offset0:3 offset1:4
	ds_write2_b32 v15, v29, v28 offset1:5
	ds_write2_b32 v15, v20, v22 offset0:6 offset1:7
	ds_write2_b32 v15, v24, v23 offset0:8 offset1:9
	;; [unrolled: 1-line block ×3, first 2 shown]
	ds_write_b32 v15, v10 offset:48
	v_cmpx_eq_u32_e32 0, v2
	s_cbranch_execz .LBB0_15
; %bb.14:
	v_pk_add_f16 v10, v5, v19
	v_pk_add_f16 v20, v18, v7 neg_lo:[0,1] neg_hi:[0,1]
	v_pk_add_f16 v22, v18, v7
	v_pk_add_f16 v23, v16, v9
	v_pk_add_f16 v21, v19, v6 neg_lo:[0,1] neg_hi:[0,1]
	v_pk_add_f16 v10, v10, v18
	v_pk_add_f16 v18, v16, v9 neg_lo:[0,1] neg_hi:[0,1]
	;; [unrolled: 2-line block ×3, first 2 shown]
	v_pk_add_f16 v25, v14, v11
	v_pk_add_f16 v27, v10, v17
	v_pk_add_f16 v19, v17, v8 neg_lo:[0,1] neg_hi:[0,1]
	v_lshrrev_b32_e32 v28, 16, v26
	v_pk_add_f16 v24, v17, v8
	v_mul_f16_e32 v29, 0x3bf1, v20
	v_pk_add_f16 v16, v27, v16
	v_mul_f16_e32 v27, 0xb94e, v21
	v_lshrrev_b32_e32 v30, 16, v22
	v_pk_add_f16 v10, v13, v12 neg_lo:[0,1] neg_hi:[0,1]
	v_pk_add_f16 v17, v13, v12
	v_pk_add_f16 v14, v16, v14
	v_fmamk_f16 v36, v28, 0xb9fd, v27
	v_mul_f16_e32 v16, 0xba95, v19
	v_lshrrev_b32_e32 v31, 16, v24
	v_lshrrev_b32_e32 v35, 16, v21
	v_pk_add_f16 v14, v14, v13
	v_mul_f16_e32 v13, 0xb9fd, v26
	v_fmamk_f16 v38, v30, 0x2fb7, v29
	v_add_f16_sdwa v36, v5, v36 dst_sel:DWORD dst_unused:UNUSED_PAD src0_sel:WORD_1 src1_sel:DWORD
	v_mul_f16_e32 v32, 0x33a8, v18
	v_pk_add_f16 v14, v14, v12
	v_lshrrev_b32_e32 v33, 16, v23
	v_mul_f16_e32 v12, 0x2fb7, v22
	v_lshrrev_b32_e32 v37, 16, v20
	v_fmamk_f16 v39, v31, 0x388b, v16
	v_pk_add_f16 v14, v11, v14
	v_fmamk_f16 v40, v35, 0x394e, v13
	v_add_f16_e32 v36, v36, v38
	v_mul_f16_e32 v11, 0x388b, v24
	v_fmamk_f16 v38, v37, 0xbbf1, v12
	v_pk_add_f16 v9, v9, v14
	v_fmamk_f16 v14, v33, 0xbbc4, v32
	v_add_f16_e32 v40, v5, v40
	v_add_f16_e32 v36, v36, v39
	v_mul_f16_e32 v34, 0x3770, v15
	v_pk_add_f16 v8, v8, v9
	v_lshrrev_b32_e32 v9, 16, v19
	v_lshrrev_b32_e32 v39, 16, v25
	v_add_f16_e32 v38, v40, v38
	v_add_f16_e32 v14, v36, v14
	v_pk_add_f16 v36, v7, v8
	v_fmamk_f16 v8, v9, 0x3a95, v11
	v_mul_f16_e32 v7, 0xbbc4, v23
	v_lshrrev_b32_e32 v40, 16, v18
	v_fmamk_f16 v41, v39, 0x3b15, v34
	v_mul_f16_e32 v42, 0xbb7b, v10
	v_lshrrev_b32_e32 v43, 16, v17
	v_add_f16_e32 v38, v38, v8
	v_fmamk_f16 v44, v40, 0xb3a8, v7
	v_mul_f16_e32 v8, 0x3b15, v25
	v_lshrrev_b32_e32 v45, 16, v15
	v_mul_f16_e32 v46, 0xbb7b, v21
	v_add_f16_e32 v14, v14, v41
	v_fmamk_f16 v41, v43, 0xb5ac, v42
	v_add_f16_e32 v38, v38, v44
	v_fmamk_f16 v44, v45, 0xb770, v8
	v_fmamk_f16 v47, v28, 0xb5ac, v46
	v_mul_f16_e32 v48, 0x394e, v20
	v_pk_add_f16 v6, v6, v36
	v_add_f16_e32 v14, v14, v41
	v_add_f16_e32 v36, v38, v44
	v_add_f16_sdwa v38, v5, v47 dst_sel:DWORD dst_unused:UNUSED_PAD src0_sel:WORD_1 src1_sel:DWORD
	v_fmamk_f16 v41, v30, 0xb9fd, v48
	v_mul_f16_e32 v44, 0x3770, v19
	v_mul_f16_e32 v51, 0xbbf1, v18
	;; [unrolled: 1-line block ×4, first 2 shown]
	v_add_f16_e32 v38, v38, v41
	v_fmamk_f16 v41, v31, 0x3b15, v44
	v_mul_f16_e32 v58, 0xbbf1, v21
	v_mul_f16_e32 v47, 0xb5ac, v17
	v_lshrrev_b32_e32 v49, 16, v10
	v_fmamk_f16 v53, v35, 0x3b7b, v50
	v_add_f16_e32 v38, v38, v41
	v_fmamk_f16 v41, v33, 0x2fb7, v51
	v_mul_f16_e32 v54, 0xb9fd, v22
	v_fmamk_f16 v61, v28, 0x2fb7, v58
	v_mul_f16_e32 v62, 0xb3a8, v20
	v_fmamk_f16 v52, v49, 0x3b7b, v47
	v_add_f16_e32 v38, v38, v41
	v_fmamk_f16 v41, v39, 0xbbc4, v55
	v_add_f16_e32 v53, v5, v53
	v_fmamk_f16 v56, v37, 0xb94e, v54
	v_mul_f16_e32 v57, 0x3b15, v24
	v_mul_f16_e32 v63, 0x3b7b, v19
	v_add_f16_e32 v38, v38, v41
	v_mul_f16_e32 v41, 0x3a95, v10
	v_add_f16_e32 v36, v36, v52
	v_add_f16_e32 v52, v53, v56
	v_fmamk_f16 v53, v9, 0xb770, v57
	v_mul_f16_e32 v56, 0x2fb7, v23
	v_fmamk_f16 v60, v43, 0x388b, v41
	v_mul_f16_e32 v65, 0x3770, v18
	v_mul_f16_e32 v59, 0xbbc4, v25
	v_add_f16_e32 v52, v52, v53
	v_fmamk_f16 v53, v40, 0x3bf1, v56
	v_add_f16_e32 v38, v38, v60
	v_add_f16_sdwa v60, v5, v61 dst_sel:DWORD dst_unused:UNUSED_PAD src0_sel:WORD_1 src1_sel:DWORD
	v_fmamk_f16 v61, v30, 0xbbc4, v62
	v_mul_f16_e32 v69, 0xba95, v15
	v_add_f16_e32 v52, v52, v53
	v_fmamk_f16 v53, v45, 0xb3a8, v59
	v_mul_f16_e32 v64, 0x2fb7, v26
	v_add_f16_e32 v60, v60, v61
	;; [unrolled: 3-line block ×3, first 2 shown]
	v_mul_f16_e32 v53, 0x388b, v17
	v_fmamk_f16 v67, v35, 0x3bf1, v64
	v_add_f16_e32 v60, v60, v61
	v_fmamk_f16 v61, v33, 0x3b15, v65
	v_mul_f16_e32 v72, 0xba95, v21
	v_fmamk_f16 v66, v49, 0xba95, v53
	v_add_f16_e32 v67, v5, v67
	v_fmamk_f16 v70, v37, 0x33a8, v68
	v_add_f16_e32 v60, v60, v61
	v_fmamk_f16 v61, v39, 0x388b, v69
	v_mul_f16_e32 v71, 0xb5ac, v24
	v_fmamk_f16 v75, v28, 0x388b, v72
	v_mul_f16_e32 v76, 0xbb7b, v20
	v_mul_f16_e32 v79, 0x388b, v26
	v_add_f16_e32 v60, v60, v61
	v_mul_f16_e32 v61, 0xb94e, v10
	v_add_f16_e32 v52, v52, v66
	v_add_f16_e32 v66, v67, v70
	v_fmamk_f16 v67, v9, 0xbb7b, v71
	v_mul_f16_e32 v70, 0x3b15, v23
	v_fmamk_f16 v74, v43, 0xb9fd, v61
	v_add_f16_sdwa v75, v5, v75 dst_sel:DWORD dst_unused:UNUSED_PAD src0_sel:WORD_1 src1_sel:DWORD
	v_fmamk_f16 v78, v30, 0xb5ac, v76
	v_mul_f16_e32 v80, 0xb3a8, v19
	v_mul_f16_e32 v81, 0xb5ac, v22
	v_add_f16_e32 v60, v60, v74
	v_fmamk_f16 v74, v35, 0x3a95, v79
	v_add_f16_e32 v66, v66, v67
	v_fmamk_f16 v67, v40, 0xb770, v70
	v_mul_f16_e32 v73, 0x388b, v25
	v_add_f16_e32 v75, v75, v78
	v_fmamk_f16 v78, v31, 0xbbc4, v80
	v_mul_f16_e32 v82, 0x394e, v18
	;; [unrolled: 3-line block ×5, first 2 shown]
	v_add_f16_e32 v74, v74, v83
	v_fmamk_f16 v83, v9, 0x33a8, v84
	v_add_f16_e32 v66, v66, v67
	v_fmamk_f16 v67, v49, 0x394e, v77
	;; [unrolled: 2-line block ×3, first 2 shown]
	v_add_f16_e32 v74, v74, v83
	v_pk_mul_f16 v83, 0xb770, v21 op_sel_hi:[0,1]
	v_mul_f16_e32 v86, 0xb9fd, v23
	v_mul_f16_e32 v87, 0x3770, v10
	v_add_f16_e32 v66, v66, v67
	v_add_f16_e32 v67, v75, v78
	v_pk_fma_f16 v75, 0x3b15, v26, v83 op_sel:[0,0,1] op_sel_hi:[0,1,0] neg_lo:[0,0,1] neg_hi:[0,0,1]
	v_pk_mul_f16 v78, 0xba95, v20 op_sel_hi:[0,1]
	v_pk_fma_f16 v83, 0x3b15, v26, v83 op_sel:[0,0,1] op_sel_hi:[0,1,0]
	v_fmamk_f16 v88, v40, 0xb94e, v86
	v_mul_f16_e32 v89, 0x2fb7, v25
	v_fmamk_f16 v90, v43, 0x3b15, v87
	v_pk_fma_f16 v91, 0x388b, v22, v78 op_sel:[0,0,1] op_sel_hi:[0,1,0] neg_lo:[0,0,1] neg_hi:[0,0,1]
	v_bfi_b32 v92, 0xffff, v75, v83
	v_pk_fma_f16 v78, 0x388b, v22, v78 op_sel:[0,0,1] op_sel_hi:[0,1,0]
	v_pk_mul_f16 v93, 0xbbf1, v19 op_sel_hi:[0,1]
	v_fma_f16 v27, v28, 0xb9fd, -v27
	v_add_f16_e32 v74, v74, v88
	v_fmamk_f16 v88, v45, 0xbbf1, v89
	v_mul_f16_e32 v94, 0x3b15, v17
	v_add_f16_e32 v67, v67, v90
	v_pk_add_f16 v90, v5, v92
	v_bfi_b32 v92, 0xffff, v91, v78
	v_pk_fma_f16 v95, 0x2fb7, v24, v93 op_sel:[0,0,1] op_sel_hi:[0,1,0] neg_lo:[0,0,1] neg_hi:[0,0,1]
	v_pk_fma_f16 v93, 0x2fb7, v24, v93 op_sel:[0,0,1] op_sel_hi:[0,1,0]
	v_pk_mul_f16 v96, 0xbb7b, v18 op_sel_hi:[0,1]
	v_add_f16_sdwa v27, v5, v27 dst_sel:DWORD dst_unused:UNUSED_PAD src0_sel:WORD_1 src1_sel:DWORD
	v_fma_f16 v29, v30, 0x2fb7, -v29
	v_fma_f16 v46, v28, 0xb5ac, -v46
	v_add_f16_e32 v74, v74, v88
	v_fmamk_f16 v88, v49, 0xb770, v94
	v_pk_add_f16 v90, v90, v92
	v_bfi_b32 v92, 0xffff, v95, v93
	v_pk_fma_f16 v97, 0xb5ac, v23, v96 op_sel:[0,0,1] op_sel_hi:[0,1,0] neg_lo:[0,0,1] neg_hi:[0,0,1]
	v_pk_fma_f16 v96, 0xb5ac, v23, v96 op_sel:[0,0,1] op_sel_hi:[0,1,0]
	v_pk_mul_f16 v98, 0xb94e, v15 op_sel_hi:[0,1]
	v_add_f16_e32 v27, v27, v29
	v_fma_f16 v16, v31, 0x388b, -v16
	v_add_f16_sdwa v29, v5, v46 dst_sel:DWORD dst_unused:UNUSED_PAD src0_sel:WORD_1 src1_sel:DWORD
	v_fma_f16 v46, v30, 0xb9fd, -v48
	v_add_f16_e32 v74, v74, v88
	v_pk_add_f16 v88, v90, v92
	v_bfi_b32 v90, 0xffff, v97, v96
	v_pk_fma_f16 v92, 0xb9fd, v25, v98 op_sel:[0,0,1] op_sel_hi:[0,1,0] neg_lo:[0,0,1] neg_hi:[0,0,1]
	v_pk_fma_f16 v98, 0xb9fd, v25, v98 op_sel:[0,0,1] op_sel_hi:[0,1,0]
	v_pk_mul_f16 v99, 0xb3a8, v10 op_sel_hi:[0,1]
	v_add_f16_e32 v16, v27, v16
	v_fma_f16 v27, v33, 0xbbc4, -v32
	v_add_f16_e32 v29, v29, v46
	v_fma_f16 v32, v31, 0x3b15, -v44
	v_fmac_f16_e32 v50, 0xbb7b, v35
	v_pk_add_f16 v88, v88, v90
	v_bfi_b32 v90, 0xffff, v92, v98
	v_pk_fma_f16 v48, 0xbbc4, v17, v99 op_sel:[0,0,1] op_sel_hi:[0,1,0] neg_lo:[0,0,1] neg_hi:[0,0,1]
	v_pk_fma_f16 v99, 0xbbc4, v17, v99 op_sel:[0,0,1] op_sel_hi:[0,1,0]
	v_add_f16_e32 v16, v16, v27
	v_add_f16_e32 v27, v29, v32
	v_fma_f16 v29, v33, 0x2fb7, -v51
	v_add_f16_e32 v32, v5, v50
	v_fmac_f16_e32 v54, 0x394e, v37
	v_fma_f16 v50, v28, 0x2fb7, -v58
	v_pk_add_f16 v44, v88, v90
	v_bfi_b32 v46, 0xffff, v48, v99
	v_fma_f16 v34, v39, 0x3b15, -v34
	v_add_f16_e32 v27, v27, v29
	v_fma_f16 v29, v39, 0xbbc4, -v55
	v_add_f16_e32 v32, v32, v54
	v_fmac_f16_e32 v57, 0x3770, v9
	v_add_f16_sdwa v50, v5, v50 dst_sel:DWORD dst_unused:UNUSED_PAD src0_sel:WORD_1 src1_sel:DWORD
	v_fma_f16 v51, v30, 0xbbc4, -v62
	v_pk_add_f16 v44, v44, v46
	v_add_f16_e32 v16, v16, v34
	v_add_f16_e32 v27, v27, v29
	;; [unrolled: 1-line block ×4, first 2 shown]
	v_fma_f16 v34, v43, 0xb5ac, -v42
	v_fma_f16 v42, v31, 0xb5ac, -v63
	v_lshl_add_u32 v3, v3, 2, 0
	v_fma_f16 v41, v43, 0x388b, -v41
	v_fmac_f16_e32 v79, 0xba95, v35
	v_fmac_f16_e32 v64, 0xbbf1, v35
	v_add_f16_e32 v32, v32, v42
	v_fma_f16 v42, v33, 0x3b15, -v65
	ds_write2_b32 v3, v6, v44 offset0:169 offset1:170
	v_pk_mul_f16 v6, 0xbbc4, v26 op_sel_hi:[0,1]
	v_add_f16_e32 v27, v27, v41
	v_fmac_f16_e32 v13, 0xb94e, v35
	v_add_f16_e32 v32, v32, v42
	v_fma_f16 v35, v39, 0x388b, -v69
	v_add_f16_e32 v41, v5, v79
	v_fmac_f16_e32 v81, 0xbb7b, v37
	v_pack_b32_f16 v14, v36, v14
	v_pk_mul_f16 v22, 0x3b15, v22 op_sel_hi:[0,1]
	v_pk_fma_f16 v36, 0xb3a8, v21, v6 op_sel:[0,0,1] op_sel_hi:[0,1,0] neg_lo:[0,1,0] neg_hi:[0,1,0]
	v_fma_f16 v28, v28, 0x388b, -v72
	v_pk_fma_f16 v6, 0xb3a8, v21, v6 op_sel:[0,0,1] op_sel_hi:[0,1,0]
	v_fmac_f16_e32 v12, 0x3bf1, v37
	v_add_f16_e32 v32, v32, v35
	v_add_f16_e32 v35, v41, v81
	v_pk_mul_f16 v24, 0xb9fd, v24 op_sel_hi:[0,1]
	v_pk_fma_f16 v41, 0x3770, v20, v22 op_sel:[0,0,1] op_sel_hi:[0,1,0] neg_lo:[0,1,0] neg_hi:[0,1,0]
	v_pack_b32_f16 v13, v13, v36
	v_fma_f16 v30, v30, 0xb5ac, -v76
	v_pk_add_f16 v6, v5, v6 op_sel:[1,0] op_sel_hi:[0,1]
	v_pk_fma_f16 v20, 0x3770, v20, v22 op_sel:[0,0,1] op_sel_hi:[0,1,0]
	v_pack_b32_f16 v28, v83, v28
	v_add_f16_e32 v46, v5, v64
	v_fmac_f16_e32 v68, 0xb3a8, v37
	v_fmac_f16_e32 v11, 0xba95, v9
	v_add_f16_sdwa v37, v5, v75 dst_sel:DWORD dst_unused:UNUSED_PAD src0_sel:WORD_1 src1_sel:WORD_1
	v_pk_mul_f16 v23, 0x388b, v23 op_sel_hi:[0,1]
	v_pk_fma_f16 v42, 0xb94e, v19, v24 op_sel:[0,0,1] op_sel_hi:[0,1,0] neg_lo:[0,1,0] neg_hi:[0,1,0]
	v_pk_add_f16 v13, v5, v13
	v_pack_b32_f16 v12, v12, v41
	v_fma_f16 v31, v31, 0xbbc4, -v80
	v_add_f16_sdwa v44, v5, v36 dst_sel:DWORD dst_unused:UNUSED_PAD src0_sel:DWORD src1_sel:WORD_1
	v_pk_add_f16 v6, v6, v20
	v_pk_add_f16 v5, v5, v28
	v_pack_b32_f16 v20, v78, v30
	v_add_f16_e32 v46, v46, v68
	v_fmac_f16_e32 v71, 0x3b7b, v9
	v_fmac_f16_e32 v7, 0x33a8, v40
	;; [unrolled: 1-line block ×3, first 2 shown]
	v_fma_f16 v9, v43, 0xb9fd, -v61
	v_add_f16_sdwa v37, v37, v91 dst_sel:DWORD dst_unused:UNUSED_PAD src0_sel:DWORD src1_sel:WORD_1
	v_pk_mul_f16 v25, 0xb5ac, v25 op_sel_hi:[0,1]
	v_pk_fma_f16 v21, 0x3a95, v18, v23 op_sel:[0,0,1] op_sel_hi:[0,1,0] neg_lo:[0,1,0] neg_hi:[0,1,0]
	v_pk_add_f16 v12, v13, v12
	v_pack_b32_f16 v11, v11, v42
	v_fma_f16 v33, v33, 0xb9fd, -v82
	v_pk_fma_f16 v19, 0xb94e, v19, v24 op_sel:[0,0,1] op_sel_hi:[0,1,0]
	v_pk_add_f16 v5, v5, v20
	v_pack_b32_f16 v13, v93, v31
	v_add_f16_sdwa v36, v44, v41 dst_sel:DWORD dst_unused:UNUSED_PAD src0_sel:DWORD src1_sel:WORD_1
	v_fmac_f16_e32 v56, 0xbbf1, v40
	v_add_f16_e32 v16, v16, v34
	v_add_f16_e32 v34, v46, v71
	v_fmac_f16_e32 v8, 0x3770, v45
	v_fmac_f16_e32 v70, 0x3770, v40
	v_add_f16_e32 v9, v32, v9
	v_add_f16_sdwa v32, v37, v95 dst_sel:DWORD dst_unused:UNUSED_PAD src0_sel:DWORD src1_sel:WORD_1
	v_fma_f16 v37, v39, 0x2fb7, -v85
	v_fma_f16 v39, v43, 0x3b15, -v87
	v_pk_fma_f16 v43, 0xbb7b, v15, v25 op_sel:[0,0,1] op_sel_hi:[0,1,0] neg_lo:[0,1,0] neg_hi:[0,1,0]
	v_pk_mul_f16 v17, 0x2fb7, v17 op_sel_hi:[0,1]
	v_pk_add_f16 v11, v12, v11
	v_pack_b32_f16 v7, v7, v21
	v_add_f16_e32 v35, v35, v84
	v_fmac_f16_e32 v86, 0x394e, v40
	v_pk_add_f16 v6, v6, v19
	v_pk_fma_f16 v18, 0x3a95, v18, v23 op_sel:[0,0,1] op_sel_hi:[0,1,0]
	v_pk_add_f16 v5, v5, v13
	v_pack_b32_f16 v13, v96, v33
	v_add_f16_sdwa v24, v36, v42 dst_sel:DWORD dst_unused:UNUSED_PAD src0_sel:DWORD src1_sel:WORD_1
	v_add_f16_e32 v29, v29, v56
	v_fmac_f16_e32 v59, 0x33a8, v45
	v_fmac_f16_e32 v47, 0xbb7b, v49
	v_add_f16_e32 v34, v34, v70
	v_fmac_f16_e32 v73, 0xba95, v45
	v_pk_fma_f16 v22, 0x3bf1, v10, v17 op_sel:[0,0,1] op_sel_hi:[0,1,0] neg_lo:[0,1,0] neg_hi:[0,1,0]
	v_pk_add_f16 v7, v11, v7
	v_pack_b32_f16 v8, v8, v43
	v_add_f16_e32 v35, v35, v86
	v_fmac_f16_e32 v89, 0x3bf1, v45
	v_pk_add_f16 v6, v6, v18
	v_pk_fma_f16 v11, 0xbb7b, v15, v25 op_sel:[0,0,1] op_sel_hi:[0,1,0]
	v_pk_add_f16 v5, v5, v13
	v_pack_b32_f16 v13, v98, v37
	v_add_f16_sdwa v12, v24, v21 dst_sel:DWORD dst_unused:UNUSED_PAD src0_sel:DWORD src1_sel:WORD_1
	v_add_f16_e32 v29, v29, v59
	v_fmac_f16_e32 v53, 0x3a95, v49
	v_add_f16_e32 v34, v34, v73
	v_fmac_f16_e32 v77, 0xb94e, v49
	v_pk_add_f16 v7, v7, v8
	v_pack_b32_f16 v8, v47, v22
	v_add_f16_e32 v35, v35, v89
	v_fmac_f16_e32 v94, 0x3770, v49
	v_pk_add_f16 v6, v6, v11
	v_pk_add_f16 v5, v5, v13
	v_pack_b32_f16 v11, v99, v39
	v_add_f16_sdwa v32, v32, v97 dst_sel:DWORD dst_unused:UNUSED_PAD src0_sel:DWORD src1_sel:WORD_1
	v_add_f16_sdwa v12, v12, v43 dst_sel:DWORD dst_unused:UNUSED_PAD src0_sel:DWORD src1_sel:WORD_1
	v_add_f16_e32 v29, v29, v53
	v_add_f16_e32 v34, v34, v77
	v_pk_fma_f16 v10, 0x3bf1, v10, v17 op_sel:[0,0,1] op_sel_hi:[0,1,0]
	v_pk_add_f16 v7, v7, v8
	v_add_f16_e32 v35, v35, v94
	v_pk_add_f16 v11, v5, v11
	v_add_f16_sdwa v32, v32, v92 dst_sel:DWORD dst_unused:UNUSED_PAD src0_sel:DWORD src1_sel:WORD_1
	v_pack_b32_f16 v40, v66, v60
	v_pack_b32_f16 v26, v74, v67
	;; [unrolled: 1-line block ×3, first 2 shown]
	v_add_f16_sdwa v12, v12, v22 dst_sel:DWORD dst_unused:UNUSED_PAD src0_sel:DWORD src1_sel:WORD_1
	v_pk_add_f16 v5, v6, v10
	v_alignbit_b32 v6, v7, v7, 16
	v_pack_b32_f16 v8, v27, v34
	v_pack_b32_f16 v7, v16, v29
	v_alignbit_b32 v10, v11, v11, 16
	v_pack_b32_f16 v9, v9, v35
	v_add_f16_sdwa v32, v32, v48 dst_sel:DWORD dst_unused:UNUSED_PAD src0_sel:DWORD src1_sel:WORD_1
	ds_write2_b32 v3, v26, v40 offset0:171 offset1:172
	ds_write2_b32 v3, v13, v14 offset0:173 offset1:174
	ds_write_b16 v3, v12 offset:700
	ds_write_b128 v3, v[5:8] offset:702
	ds_write_b64 v3, v[9:10] offset:718
	ds_write_b16 v3, v32 offset:726
.LBB0_15:
	s_or_b32 exec_lo, exec_lo, s1
	v_mov_b32_e32 v3, 0
	v_add_nc_u16 v8, v2, 0x4e
	v_add_nc_u16 v7, v2, 0x41
	;; [unrolled: 1-line block ×4, first 2 shown]
	v_lshlrev_b64 v[5:6], 2, v[2:3]
	v_add_nc_u16 v3, v2, 26
	v_and_b32_e32 v12, 0xff, v8
	v_and_b32_e32 v13, 0xff, v7
	;; [unrolled: 1-line block ×5, first 2 shown]
	v_mul_lo_u16 v12, 0x4f, v12
	v_mul_lo_u16 v13, 0x4f, v13
	;; [unrolled: 1-line block ×5, first 2 shown]
	v_lshrrev_b16 v12, 10, v12
	v_lshrrev_b16 v13, 10, v13
	;; [unrolled: 1-line block ×5, first 2 shown]
	v_mul_lo_u16 v12, v12, 13
	v_mul_lo_u16 v13, v13, 13
	;; [unrolled: 1-line block ×5, first 2 shown]
	v_mov_b32_e32 v16, 2
	v_sub_nc_u16 v8, v8, v12
	v_sub_nc_u16 v7, v7, v13
	;; [unrolled: 1-line block ×5, first 2 shown]
	v_lshlrev_b32_sdwa v17, v16, v8 dst_sel:DWORD dst_unused:UNUSED_PAD src0_sel:DWORD src1_sel:BYTE_0
	v_lshlrev_b32_sdwa v18, v16, v7 dst_sel:DWORD dst_unused:UNUSED_PAD src0_sel:DWORD src1_sel:BYTE_0
	;; [unrolled: 1-line block ×3, first 2 shown]
	v_add_co_u32 v5, s0, s8, v5
	v_lshlrev_b32_sdwa v20, v16, v10 dst_sel:DWORD dst_unused:UNUSED_PAD src0_sel:DWORD src1_sel:BYTE_0
	v_lshlrev_b32_sdwa v21, v16, v3 dst_sel:DWORD dst_unused:UNUSED_PAD src0_sel:DWORD src1_sel:BYTE_0
	s_waitcnt lgkmcnt(0)
	s_barrier
	buffer_gl0_inv
	v_add_co_ci_u32_e64 v6, s0, s9, v6, s0
	s_clause 0x5
	global_load_dword v22, v17, s[8:9]
	global_load_dword v23, v18, s[8:9]
	;; [unrolled: 1-line block ×5, first 2 shown]
	global_load_dword v27, v[5:6], off
	v_lshlrev_b32_e32 v7, 2, v2
	v_add_nc_u32_e32 v28, 0, v4
	v_add3_u32 v3, 0, v7, v4
	ds_read_b32 v29, v3 offset:676
	ds_read2_b32 v[5:6], v3 offset0:143 offset1:156
	v_add_nc_u32_e32 v4, v28, v7
	ds_read2_b32 v[7:8], v3 offset0:117 offset1:130
	ds_read2_b32 v[9:10], v3 offset0:91 offset1:104
	ds_read_b32 v30, v4
	ds_read2_b32 v[11:12], v3 offset0:13 offset1:26
	ds_read2_b32 v[13:14], v3 offset0:39 offset1:52
	;; [unrolled: 1-line block ×3, first 2 shown]
	v_add_nc_u32_e32 v21, v28, v21
	v_add_nc_u32_e32 v20, v28, v20
	;; [unrolled: 1-line block ×5, first 2 shown]
	s_waitcnt vmcnt(0) lgkmcnt(0)
	s_barrier
	buffer_gl0_inv
	v_pk_mul_f16 v28, v29, v22 op_sel:[0,1]
	v_pk_mul_f16 v31, v6, v23 op_sel:[0,1]
	;; [unrolled: 1-line block ×7, first 2 shown]
	v_pk_fma_f16 v37, v29, v22, v28 op_sel:[0,0,1] op_sel_hi:[1,1,0] neg_lo:[0,0,1] neg_hi:[0,0,1]
	v_pk_fma_f16 v22, v29, v22, v28 op_sel:[0,0,1] op_sel_hi:[1,0,0]
	v_pk_fma_f16 v28, v6, v23, v31 op_sel:[0,0,1] op_sel_hi:[1,1,0] neg_lo:[0,0,1] neg_hi:[0,0,1]
	v_pk_fma_f16 v6, v6, v23, v31 op_sel:[0,0,1] op_sel_hi:[1,0,0]
	;; [unrolled: 2-line block ×7, first 2 shown]
	v_bfi_b32 v7, 0xffff, v25, v7
	v_bfi_b32 v8, 0xffff, v24, v8
	;; [unrolled: 1-line block ×7, first 2 shown]
	v_pk_add_f16 v9, v30, v9 neg_lo:[0,1] neg_hi:[0,1]
	v_pk_add_f16 v7, v12, v7 neg_lo:[0,1] neg_hi:[0,1]
	v_pk_add_f16 v10, v11, v10 neg_lo:[0,1] neg_hi:[0,1]
	v_pk_add_f16 v8, v13, v8 neg_lo:[0,1] neg_hi:[0,1]
	v_pk_add_f16 v5, v14, v5 neg_lo:[0,1] neg_hi:[0,1]
	v_pk_add_f16 v22, v16, v22 neg_lo:[0,1] neg_hi:[0,1]
	v_pk_add_f16 v6, v15, v6 neg_lo:[0,1] neg_hi:[0,1]
	v_pk_fma_f16 v23, v30, 2.0, v9 op_sel_hi:[1,0,1] neg_lo:[0,0,1] neg_hi:[0,0,1]
	v_pk_fma_f16 v11, v11, 2.0, v10 op_sel_hi:[1,0,1] neg_lo:[0,0,1] neg_hi:[0,0,1]
	;; [unrolled: 1-line block ×7, first 2 shown]
	ds_write2_b32 v3, v23, v9 offset1:13
	ds_write2_b32 v3, v11, v10 offset0:26 offset1:39
	ds_write2_b32 v21, v12, v7 offset0:52 offset1:65
	;; [unrolled: 1-line block ×6, first 2 shown]
	s_waitcnt lgkmcnt(0)
	s_barrier
	buffer_gl0_inv
	s_and_saveexec_b32 s0, vcc_lo
	s_cbranch_execz .LBB0_17
; %bb.16:
	v_mul_u32_u24_e32 v5, 6, v2
	v_add_nc_u32_e32 v10, 13, v2
	v_mul_hi_u32 v17, 0x4ec4ec4f, v2
	v_add_nc_u32_e32 v29, 13, v2
	v_add_co_u32 v58, vcc_lo, s12, v0
	v_lshlrev_b32_e32 v9, 2, v5
	v_mul_u32_u24_e32 v10, 6, v10
	v_mul_hi_u32 v30, 0x4ec4ec4f, v29
	v_add_co_ci_u32_e32 v59, vcc_lo, s13, v1, vcc_lo
	s_clause 0x1
	global_load_dwordx4 v[5:8], v9, s[8:9] offset:52
	global_load_dwordx2 v[13:14], v9, s[8:9] offset:68
	v_lshlrev_b32_e32 v15, 2, v10
	v_lshrrev_b32_e32 v21, 3, v17
	s_clause 0x1
	global_load_dwordx4 v[9:12], v15, s[8:9] offset:52
	global_load_dwordx2 v[15:16], v15, s[8:9] offset:68
	v_mul_lo_u32 v31, v21, 26
	v_lshrrev_b32_e32 v39, 3, v30
	ds_read2_b32 v[17:18], v3 offset0:39 offset1:52
	ds_read2_b32 v[19:20], v3 offset0:117 offset1:130
	;; [unrolled: 1-line block ×6, first 2 shown]
	ds_read_b32 v56, v3 offset:676
	ds_read_b32 v57, v4
	v_sub_nc_u32_e32 v41, v2, v31
	v_mul_lo_u32 v2, v39, 26
	v_add_nc_u32_e32 v42, 26, v41
	v_add_nc_u32_e32 v44, 52, v41
	v_add_nc_u32_e32 v45, 0x4e, v41
	v_add_nc_u32_e32 v46, 0x68, v41
	v_mad_u64_u32 v[0:1], null, s2, v41, 0
	v_mad_u64_u32 v[3:4], null, s2, v42, 0
	v_add_nc_u32_e32 v47, 0x82, v41
	v_add_nc_u32_e32 v48, 0x9c, v41
	v_sub_nc_u32_e32 v2, v29, v2
	v_mad_u64_u32 v[29:30], null, s2, v44, 0
	v_mad_u64_u32 v[31:32], null, s2, v45, 0
	;; [unrolled: 1-line block ×7, first 2 shown]
	v_mov_b32_e32 v2, v4
	v_mov_b32_e32 v4, v30
	;; [unrolled: 1-line block ×6, first 2 shown]
	v_mad_u64_u32 v[40:41], null, s2, v39, 0
	v_mad_u64_u32 v[42:43], null, s3, v42, v[2:3]
	v_add_nc_u32_e32 v60, 26, v39
	v_add_nc_u32_e32 v61, 52, v39
	;; [unrolled: 1-line block ×3, first 2 shown]
	v_lshlrev_b64 v[0:1], 2, v[0:1]
	v_mov_b32_e32 v2, v41
	v_add_nc_u32_e32 v63, 0x68, v39
	v_mad_u64_u32 v[50:51], null, s2, v61, 0
	v_mad_u64_u32 v[52:53], null, s2, v62, 0
	v_add_co_u32 v0, vcc_lo, v58, v0
	v_add_co_ci_u32_e32 v1, vcc_lo, v59, v1, vcc_lo
	v_mad_u64_u32 v[54:55], null, s2, v63, 0
	s_waitcnt vmcnt(3)
	v_mad_u64_u32 v[43:44], null, s3, v44, v[4:5]
	v_mad_u64_u32 v[44:45], null, s3, v45, v[30:31]
	;; [unrolled: 1-line block ×6, first 2 shown]
	v_mov_b32_e32 v4, v42
	v_mad_u64_u32 v[41:42], null, s3, v39, v[2:3]
	v_mov_b32_e32 v32, v44
	v_mov_b32_e32 v34, v45
	v_lshlrev_b64 v[3:4], 2, v[3:4]
	v_mov_b32_e32 v2, v49
	v_mov_b32_e32 v30, v43
	;; [unrolled: 1-line block ×5, first 2 shown]
	v_mad_u64_u32 v[44:45], null, s3, v60, v[2:3]
	v_add_co_u32 v2, vcc_lo, v58, v3
	v_mov_b32_e32 v43, v53
	v_add_co_ci_u32_e32 v3, vcc_lo, v59, v4, vcc_lo
	v_lshrrev_b32_e32 v4, 16, v5
	v_mov_b32_e32 v49, v44
	v_lshrrev_b32_e32 v46, 16, v6
	v_lshrrev_b32_e32 v47, 16, v7
	s_waitcnt vmcnt(2)
	v_lshrrev_b32_e32 v51, 16, v14
	s_waitcnt lgkmcnt(3)
	v_mul_f16_sdwa v53, v14, v26 dst_sel:DWORD dst_unused:UNUSED_PAD src0_sel:DWORD src1_sel:WORD_1
	v_lshlrev_b64 v[44:45], 2, v[48:49]
	v_lshrrev_b32_e32 v48, 16, v8
	v_lshrrev_b32_e32 v49, 16, v13
	s_waitcnt lgkmcnt(2)
	v_mul_f16_sdwa v60, v5, v28 dst_sel:DWORD dst_unused:UNUSED_PAD src0_sel:DWORD src1_sel:WORD_1
	v_mul_f16_sdwa v64, v7, v24 dst_sel:DWORD dst_unused:UNUSED_PAD src0_sel:DWORD src1_sel:WORD_1
	;; [unrolled: 1-line block ×5, first 2 shown]
	s_waitcnt vmcnt(1)
	v_lshrrev_b32_e32 v68, 16, v9
	v_lshrrev_b32_e32 v69, 16, v10
	;; [unrolled: 1-line block ×4, first 2 shown]
	s_waitcnt vmcnt(0)
	v_lshrrev_b32_e32 v72, 16, v15
	v_lshrrev_b32_e32 v73, 16, v16
	s_waitcnt lgkmcnt(1)
	v_mul_f16_sdwa v74, v16, v56 dst_sel:DWORD dst_unused:UNUSED_PAD src0_sel:DWORD src1_sel:WORD_1
	v_mul_f16_sdwa v75, v9, v17 dst_sel:DWORD dst_unused:UNUSED_PAD src0_sel:DWORD src1_sel:WORD_1
	v_mul_f16_sdwa v76, v11, v21 dst_sel:DWORD dst_unused:UNUSED_PAD src0_sel:DWORD src1_sel:WORD_1
	v_mul_f16_sdwa v77, v12, v19 dst_sel:DWORD dst_unused:UNUSED_PAD src0_sel:DWORD src1_sel:WORD_1
	v_mul_f16_sdwa v78, v15, v25 dst_sel:DWORD dst_unused:UNUSED_PAD src0_sel:DWORD src1_sel:WORD_1
	v_mul_f16_sdwa v79, v10, v23 dst_sel:DWORD dst_unused:UNUSED_PAD src0_sel:DWORD src1_sel:WORD_1
	v_mul_f16_sdwa v80, v4, v28 dst_sel:DWORD dst_unused:UNUSED_PAD src0_sel:DWORD src1_sel:WORD_1
	v_mul_f16_sdwa v81, v51, v26 dst_sel:DWORD dst_unused:UNUSED_PAD src0_sel:DWORD src1_sel:WORD_1
	v_mul_f16_sdwa v82, v48, v22 dst_sel:DWORD dst_unused:UNUSED_PAD src0_sel:DWORD src1_sel:WORD_1
	v_mul_f16_sdwa v83, v47, v24 dst_sel:DWORD dst_unused:UNUSED_PAD src0_sel:DWORD src1_sel:WORD_1
	v_mul_f16_sdwa v84, v46, v18 dst_sel:DWORD dst_unused:UNUSED_PAD src0_sel:DWORD src1_sel:WORD_1
	v_mul_f16_sdwa v85, v49, v20 dst_sel:DWORD dst_unused:UNUSED_PAD src0_sel:DWORD src1_sel:WORD_1
	v_fmac_f16_e32 v53, v26, v51
	v_fmac_f16_e32 v60, v4, v28
	;; [unrolled: 1-line block ×6, first 2 shown]
	v_mul_f16_sdwa v4, v68, v17 dst_sel:DWORD dst_unused:UNUSED_PAD src0_sel:DWORD src1_sel:WORD_1
	v_mul_f16_sdwa v46, v73, v56 dst_sel:DWORD dst_unused:UNUSED_PAD src0_sel:DWORD src1_sel:WORD_1
	;; [unrolled: 1-line block ×6, first 2 shown]
	v_fmac_f16_e32 v74, v56, v73
	v_fmac_f16_e32 v75, v17, v68
	;; [unrolled: 1-line block ×6, first 2 shown]
	v_fma_f16 v5, v5, v28, -v80
	v_fma_f16 v14, v14, v26, -v81
	v_fma_f16 v8, v8, v22, -v82
	v_fma_f16 v7, v7, v24, -v83
	v_fma_f16 v6, v6, v18, -v84
	v_fma_f16 v13, v13, v20, -v85
	v_add_f16_e32 v18, v60, v53
	v_add_f16_e32 v20, v65, v64
	;; [unrolled: 1-line block ×3, first 2 shown]
	v_sub_f16_e32 v24, v60, v53
	v_sub_f16_e32 v26, v65, v64
	;; [unrolled: 1-line block ×3, first 2 shown]
	v_fma_f16 v4, v9, v17, -v4
	v_fma_f16 v9, v16, v56, -v46
	v_fma_f16 v12, v12, v19, -v47
	v_fma_f16 v11, v11, v21, -v48
	v_fma_f16 v10, v10, v23, -v49
	v_fma_f16 v15, v15, v25, -v51
	v_add_f16_e32 v16, v75, v74
	v_add_f16_e32 v17, v77, v76
	;; [unrolled: 1-line block ×3, first 2 shown]
	v_sub_f16_e32 v21, v75, v74
	v_sub_f16_e32 v23, v77, v76
	v_sub_f16_e32 v25, v79, v78
	v_sub_f16_e32 v46, v5, v14
	v_sub_f16_e32 v47, v8, v7
	v_sub_f16_e32 v48, v6, v13
	v_sub_f16_e32 v51, v20, v22
	v_add_f16_e32 v53, v18, v22
	v_add_f16_e32 v5, v5, v14
	;; [unrolled: 1-line block ×4, first 2 shown]
	v_sub_f16_e32 v49, v18, v20
	v_sub_f16_e32 v8, v24, v26
	;; [unrolled: 1-line block ×3, first 2 shown]
	v_add_f16_e32 v14, v26, v28
	v_sub_f16_e32 v18, v22, v18
	v_sub_f16_e32 v22, v28, v24
	;; [unrolled: 1-line block ×7, first 2 shown]
	v_add_f16_e32 v65, v16, v19
	v_add_f16_e32 v4, v4, v9
	;; [unrolled: 1-line block ×4, first 2 shown]
	v_sub_f16_e32 v11, v21, v23
	v_sub_f16_e32 v12, v23, v25
	v_add_f16_e32 v15, v23, v25
	v_sub_f16_e32 v16, v19, v16
	v_sub_f16_e32 v19, v25, v21
	;; [unrolled: 1-line block ×4, first 2 shown]
	v_add_f16_e32 v47, v47, v48
	v_mul_f16_e32 v51, 0x2b26, v51
	v_add_f16_e32 v20, v20, v53
	v_sub_f16_e32 v67, v7, v6
	v_add_f16_e32 v68, v5, v6
	v_mul_f16_e32 v66, 0x3a52, v49
	v_sub_f16_e32 v53, v5, v7
	v_mul_f16_e32 v13, 0xb846, v13
	v_add_f16_e32 v14, v24, v14
	v_sub_f16_e32 v24, v48, v46
	v_sub_f16_e32 v5, v6, v5
	v_mul_f16_e32 v6, 0x3b00, v22
	v_sub_f16_e32 v69, v28, v56
	v_add_f16_e32 v72, v4, v10
	v_mul_f16_e32 v12, 0xb846, v12
	v_add_f16_e32 v46, v46, v47
	v_fmamk_f16 v47, v49, 0x3a52, v51
	s_waitcnt lgkmcnt(0)
	v_add_f16_sdwa v49, v20, v57 dst_sel:DWORD dst_unused:UNUSED_PAD src0_sel:DWORD src1_sel:WORD_1
	v_mul_f16_e32 v67, 0x2b26, v67
	v_add_f16_e32 v7, v7, v68
	v_sub_f16_e32 v48, v26, v28
	v_add_f16_e32 v28, v28, v56
	v_mul_f16_e32 v70, 0x3a52, v60
	v_mul_f16_e32 v64, 0x2b26, v64
	v_add_f16_e32 v17, v17, v65
	v_sub_f16_e32 v65, v4, v9
	v_sub_f16_e32 v71, v9, v10
	v_add_f16_e32 v15, v21, v15
	v_sub_f16_e32 v21, v56, v26
	v_sub_f16_e32 v4, v10, v4
	v_mul_f16_e32 v10, 0x3b00, v19
	v_mul_f16_e32 v25, 0xb846, v25
	;; [unrolled: 1-line block ×3, first 2 shown]
	v_fmamk_f16 v68, v8, 0x3574, v13
	v_fma_f16 v66, v18, 0xb9e0, -v66
	v_fma_f16 v6, v8, 0xb574, -v6
	;; [unrolled: 1-line block ×3, first 2 shown]
	v_mul_f16_e32 v18, 0xb846, v69
	v_add_f16_e32 v9, v9, v72
	v_fmamk_f16 v69, v11, 0x3574, v12
	v_fma_f16 v12, v19, 0x3b00, -v12
	v_fmamk_f16 v19, v20, 0xbcab, v49
	v_fmamk_f16 v20, v53, 0x3a52, v67
	v_add_f16_e32 v53, v7, v57
	v_lshlrev_b64 v[29:30], 2, v[29:30]
	v_mul_f16_e32 v73, 0x3b00, v24
	v_lshlrev_b64 v[31:32], 2, v[31:32]
	v_fma_f16 v13, v22, 0x3b00, -v13
	v_add_f16_e32 v22, v26, v28
	v_fmamk_f16 v26, v60, 0x3a52, v64
	v_add_f16_sdwa v28, v17, v27 dst_sel:DWORD dst_unused:UNUSED_PAD src0_sel:DWORD src1_sel:WORD_1
	v_mul_f16_e32 v51, 0x3a52, v65
	v_mul_f16_e32 v60, 0x2b26, v71
	v_fma_f16 v70, v16, 0xb9e0, -v70
	v_fma_f16 v10, v11, 0xb574, -v10
	;; [unrolled: 1-line block ×3, first 2 shown]
	v_fmamk_f16 v16, v23, 0x3574, v25
	v_fma_f16 v56, v5, 0xb9e0, -v56
	v_fma_f16 v5, v5, 0x39e0, -v67
	v_add_f16_e32 v27, v9, v27
	v_fmamk_f16 v7, v7, 0xbcab, v53
	v_fma_f16 v23, v23, 0xb574, -v73
	v_fma_f16 v24, v24, 0x3b00, -v25
	v_lshlrev_b64 v[33:34], 2, v[33:34]
	v_add_co_u32 v29, vcc_lo, v58, v29
	v_add_co_ci_u32_e32 v30, vcc_lo, v59, v30, vcc_lo
	v_mul_f16_e32 v71, 0x3b00, v21
	v_lshlrev_b64 v[35:36], 2, v[35:36]
	v_add_co_u32 v31, vcc_lo, v58, v31
	v_fmac_f16_e32 v68, 0x370e, v14
	v_fmac_f16_e32 v6, 0x370e, v14
	;; [unrolled: 1-line block ×3, first 2 shown]
	v_fmamk_f16 v14, v48, 0x3574, v18
	v_fmamk_f16 v17, v17, 0xbcab, v28
	;; [unrolled: 1-line block ×3, first 2 shown]
	v_fmac_f16_e32 v69, 0x370e, v15
	v_fma_f16 v51, v4, 0xb9e0, -v51
	v_fmac_f16_e32 v10, 0x370e, v15
	v_fma_f16 v18, v21, 0x3b00, -v18
	v_fma_f16 v4, v4, 0x39e0, -v60
	v_fmac_f16_e32 v12, 0x370e, v15
	v_fmac_f16_e32 v16, 0x370e, v46
	v_add_f16_e32 v15, v47, v19
	v_add_f16_e32 v21, v66, v19
	;; [unrolled: 1-line block ×3, first 2 shown]
	v_pack_b32_f16 v19, v53, v49
	v_fmamk_f16 v9, v9, 0xbcab, v27
	v_add_f16_e32 v20, v20, v7
	v_add_f16_e32 v5, v5, v7
	v_fmac_f16_e32 v23, 0x370e, v46
	v_fmac_f16_e32 v24, 0x370e, v46
	v_add_f16_e32 v47, v56, v7
	v_add_co_ci_u32_e32 v32, vcc_lo, v59, v32, vcc_lo
	v_lshlrev_b64 v[37:38], 2, v[37:38]
	v_add_co_u32 v33, vcc_lo, v58, v33
	v_fma_f16 v48, v48, 0xb574, -v71
	v_add_co_ci_u32_e32 v34, vcc_lo, v59, v34, vcc_lo
	v_fmac_f16_e32 v14, 0x370e, v22
	v_add_f16_e32 v26, v26, v17
	v_add_f16_e32 v46, v70, v17
	;; [unrolled: 1-line block ×3, first 2 shown]
	v_fmac_f16_e32 v18, 0x370e, v22
	v_add_f16_e32 v17, v16, v15
	v_sub_f16_e32 v15, v15, v16
	global_store_dword v[0:1], v19, off
	v_add_f16_e32 v1, v25, v9
	v_add_f16_e32 v4, v4, v9
	;; [unrolled: 1-line block ×3, first 2 shown]
	v_sub_f16_e32 v5, v5, v13
	v_add_f16_e32 v13, v68, v20
	v_add_co_u32 v35, vcc_lo, v58, v35
	v_lshlrev_b64 v[40:41], 2, v[40:41]
	v_sub_f16_e32 v49, v8, v24
	v_add_f16_e32 v7, v24, v8
	v_sub_f16_e32 v8, v21, v23
	v_sub_f16_e32 v24, v47, v6
	v_add_f16_e32 v6, v6, v47
	v_add_co_ci_u32_e32 v36, vcc_lo, v59, v36, vcc_lo
	v_add_co_u32 v37, vcc_lo, v58, v37
	v_fmac_f16_e32 v48, 0x370e, v22
	v_add_f16_e32 v22, v23, v21
	v_pack_b32_f16 v0, v27, v28
	v_add_f16_e32 v16, v14, v26
	v_sub_f16_e32 v23, v11, v18
	v_add_f16_e32 v18, v18, v11
	v_sub_f16_e32 v11, v26, v14
	v_sub_f16_e32 v14, v20, v68
	;; [unrolled: 1-line block ×3, first 2 shown]
	v_add_f16_e32 v27, v12, v4
	v_sub_f16_e32 v28, v4, v12
	v_add_f16_e32 v4, v69, v1
	v_pack_b32_f16 v1, v13, v15
	v_add_co_ci_u32_e32 v38, vcc_lo, v59, v38, vcc_lo
	v_pack_b32_f16 v6, v6, v8
	v_add_co_u32 v40, vcc_lo, v58, v40
	v_pack_b32_f16 v5, v5, v7
	v_pack_b32_f16 v7, v25, v49
	v_add_co_ci_u32_e32 v41, vcc_lo, v59, v41, vcc_lo
	v_pack_b32_f16 v8, v24, v22
	v_add_co_u32 v44, vcc_lo, v58, v44
	v_pack_b32_f16 v12, v14, v17
	global_store_dword v[2:3], v1, off
	global_store_dword v[29:30], v6, off
	;; [unrolled: 1-line block ×7, first 2 shown]
	v_add_nc_u32_e32 v8, 0x82, v39
	v_mad_u64_u32 v[0:1], null, s3, v61, v[42:43]
	v_pack_b32_f16 v7, v4, v11
	v_mad_u64_u32 v[1:2], null, s3, v62, v[43:44]
	v_mad_u64_u32 v[3:4], null, s2, v8, 0
	v_mov_b32_e32 v2, v55
	v_add_nc_u32_e32 v11, 0x9c, v39
	v_add_f16_e32 v21, v51, v9
	v_mov_b32_e32 v51, v0
	v_mov_b32_e32 v53, v1
	v_add_co_ci_u32_e32 v45, vcc_lo, v59, v45, vcc_lo
	v_mad_u64_u32 v[5:6], null, s3, v63, v[2:3]
	v_mad_u64_u32 v[1:2], null, s2, v11, 0
	v_mov_b32_e32 v0, v4
	global_store_dword v[44:45], v7, off
	v_lshlrev_b64 v[6:7], 2, v[50:51]
	v_sub_f16_e32 v9, v46, v48
	v_mov_b32_e32 v55, v5
	v_sub_f16_e32 v26, v21, v10
	v_mad_u64_u32 v[4:5], null, s3, v8, v[0:1]
	v_mov_b32_e32 v0, v2
	v_add_f16_e32 v10, v10, v21
	v_add_co_u32 v5, vcc_lo, v58, v6
	v_add_co_ci_u32_e32 v6, vcc_lo, v59, v7, vcc_lo
	v_mad_u64_u32 v[11:12], null, s3, v11, v[0:1]
	v_lshlrev_b64 v[7:8], 2, v[52:53]
	v_pack_b32_f16 v13, v10, v9
	v_lshlrev_b64 v[9:10], 2, v[54:55]
	v_lshlrev_b64 v[3:4], 2, v[3:4]
	v_add_f16_e32 v19, v48, v46
	v_pack_b32_f16 v12, v28, v18
	v_mov_b32_e32 v2, v11
	v_add_co_u32 v7, vcc_lo, v58, v7
	v_add_co_ci_u32_e32 v8, vcc_lo, v59, v8, vcc_lo
	v_add_co_u32 v9, vcc_lo, v58, v9
	v_lshlrev_b64 v[0:1], 2, v[1:2]
	v_add_co_ci_u32_e32 v10, vcc_lo, v59, v10, vcc_lo
	v_add_co_u32 v2, vcc_lo, v58, v3
	v_add_co_ci_u32_e32 v3, vcc_lo, v59, v4, vcc_lo
	v_pack_b32_f16 v11, v27, v23
	v_add_co_u32 v0, vcc_lo, v58, v0
	v_pack_b32_f16 v4, v26, v19
	v_add_co_ci_u32_e32 v1, vcc_lo, v59, v1, vcc_lo
	v_pack_b32_f16 v14, v20, v16
	global_store_dword v[5:6], v13, off
	global_store_dword v[7:8], v12, off
	;; [unrolled: 1-line block ×5, first 2 shown]
.LBB0_17:
	s_endpgm
	.section	.rodata,"a",@progbits
	.p2align	6, 0x0
	.amdhsa_kernel fft_rtc_fwd_len182_factors_13_2_7_wgs_52_tpt_13_half_ip_CI_sbrr_dirReg
		.amdhsa_group_segment_fixed_size 0
		.amdhsa_private_segment_fixed_size 0
		.amdhsa_kernarg_size 88
		.amdhsa_user_sgpr_count 6
		.amdhsa_user_sgpr_private_segment_buffer 1
		.amdhsa_user_sgpr_dispatch_ptr 0
		.amdhsa_user_sgpr_queue_ptr 0
		.amdhsa_user_sgpr_kernarg_segment_ptr 1
		.amdhsa_user_sgpr_dispatch_id 0
		.amdhsa_user_sgpr_flat_scratch_init 0
		.amdhsa_user_sgpr_private_segment_size 0
		.amdhsa_wavefront_size32 1
		.amdhsa_uses_dynamic_stack 0
		.amdhsa_system_sgpr_private_segment_wavefront_offset 0
		.amdhsa_system_sgpr_workgroup_id_x 1
		.amdhsa_system_sgpr_workgroup_id_y 0
		.amdhsa_system_sgpr_workgroup_id_z 0
		.amdhsa_system_sgpr_workgroup_info 0
		.amdhsa_system_vgpr_workitem_id 0
		.amdhsa_next_free_vgpr 100
		.amdhsa_next_free_sgpr 23
		.amdhsa_reserve_vcc 1
		.amdhsa_reserve_flat_scratch 0
		.amdhsa_float_round_mode_32 0
		.amdhsa_float_round_mode_16_64 0
		.amdhsa_float_denorm_mode_32 3
		.amdhsa_float_denorm_mode_16_64 3
		.amdhsa_dx10_clamp 1
		.amdhsa_ieee_mode 1
		.amdhsa_fp16_overflow 0
		.amdhsa_workgroup_processor_mode 1
		.amdhsa_memory_ordered 1
		.amdhsa_forward_progress 0
		.amdhsa_shared_vgpr_count 0
		.amdhsa_exception_fp_ieee_invalid_op 0
		.amdhsa_exception_fp_denorm_src 0
		.amdhsa_exception_fp_ieee_div_zero 0
		.amdhsa_exception_fp_ieee_overflow 0
		.amdhsa_exception_fp_ieee_underflow 0
		.amdhsa_exception_fp_ieee_inexact 0
		.amdhsa_exception_int_div_zero 0
	.end_amdhsa_kernel
	.text
.Lfunc_end0:
	.size	fft_rtc_fwd_len182_factors_13_2_7_wgs_52_tpt_13_half_ip_CI_sbrr_dirReg, .Lfunc_end0-fft_rtc_fwd_len182_factors_13_2_7_wgs_52_tpt_13_half_ip_CI_sbrr_dirReg
                                        ; -- End function
	.section	.AMDGPU.csdata,"",@progbits
; Kernel info:
; codeLenInByte = 11800
; NumSgprs: 25
; NumVgprs: 100
; ScratchSize: 0
; MemoryBound: 0
; FloatMode: 240
; IeeeMode: 1
; LDSByteSize: 0 bytes/workgroup (compile time only)
; SGPRBlocks: 3
; VGPRBlocks: 12
; NumSGPRsForWavesPerEU: 25
; NumVGPRsForWavesPerEU: 100
; Occupancy: 9
; WaveLimiterHint : 1
; COMPUTE_PGM_RSRC2:SCRATCH_EN: 0
; COMPUTE_PGM_RSRC2:USER_SGPR: 6
; COMPUTE_PGM_RSRC2:TRAP_HANDLER: 0
; COMPUTE_PGM_RSRC2:TGID_X_EN: 1
; COMPUTE_PGM_RSRC2:TGID_Y_EN: 0
; COMPUTE_PGM_RSRC2:TGID_Z_EN: 0
; COMPUTE_PGM_RSRC2:TIDIG_COMP_CNT: 0
	.text
	.p2alignl 6, 3214868480
	.fill 48, 4, 3214868480
	.type	__hip_cuid_1e0b6163a832f335,@object ; @__hip_cuid_1e0b6163a832f335
	.section	.bss,"aw",@nobits
	.globl	__hip_cuid_1e0b6163a832f335
__hip_cuid_1e0b6163a832f335:
	.byte	0                               ; 0x0
	.size	__hip_cuid_1e0b6163a832f335, 1

	.ident	"AMD clang version 19.0.0git (https://github.com/RadeonOpenCompute/llvm-project roc-6.4.0 25133 c7fe45cf4b819c5991fe208aaa96edf142730f1d)"
	.section	".note.GNU-stack","",@progbits
	.addrsig
	.addrsig_sym __hip_cuid_1e0b6163a832f335
	.amdgpu_metadata
---
amdhsa.kernels:
  - .args:
      - .actual_access:  read_only
        .address_space:  global
        .offset:         0
        .size:           8
        .value_kind:     global_buffer
      - .offset:         8
        .size:           8
        .value_kind:     by_value
      - .actual_access:  read_only
        .address_space:  global
        .offset:         16
        .size:           8
        .value_kind:     global_buffer
      - .actual_access:  read_only
        .address_space:  global
        .offset:         24
        .size:           8
        .value_kind:     global_buffer
      - .offset:         32
        .size:           8
        .value_kind:     by_value
      - .actual_access:  read_only
        .address_space:  global
        .offset:         40
        .size:           8
        .value_kind:     global_buffer
      - .actual_access:  read_only
        .address_space:  global
        .offset:         48
        .size:           8
        .value_kind:     global_buffer
      - .offset:         56
        .size:           4
        .value_kind:     by_value
      - .actual_access:  read_only
        .address_space:  global
        .offset:         64
        .size:           8
        .value_kind:     global_buffer
      - .actual_access:  read_only
        .address_space:  global
        .offset:         72
        .size:           8
        .value_kind:     global_buffer
      - .address_space:  global
        .offset:         80
        .size:           8
        .value_kind:     global_buffer
    .group_segment_fixed_size: 0
    .kernarg_segment_align: 8
    .kernarg_segment_size: 88
    .language:       OpenCL C
    .language_version:
      - 2
      - 0
    .max_flat_workgroup_size: 52
    .name:           fft_rtc_fwd_len182_factors_13_2_7_wgs_52_tpt_13_half_ip_CI_sbrr_dirReg
    .private_segment_fixed_size: 0
    .sgpr_count:     25
    .sgpr_spill_count: 0
    .symbol:         fft_rtc_fwd_len182_factors_13_2_7_wgs_52_tpt_13_half_ip_CI_sbrr_dirReg.kd
    .uniform_work_group_size: 1
    .uses_dynamic_stack: false
    .vgpr_count:     100
    .vgpr_spill_count: 0
    .wavefront_size: 32
    .workgroup_processor_mode: 1
amdhsa.target:   amdgcn-amd-amdhsa--gfx1030
amdhsa.version:
  - 1
  - 2
...

	.end_amdgpu_metadata
